;; amdgpu-corpus repo=ROCm/rocThrust kind=compiled arch=gfx90a opt=O3
	.text
	.amdgcn_target "amdgcn-amd-amdhsa--gfx90a"
	.amdhsa_code_object_version 6
	.section	.text._ZN6thrust23THRUST_200600_302600_NS11hip_rocprim14__parallel_for6kernelILj256ENS1_20__uninitialized_fill7functorINS0_10device_ptrIiEEiEEmLj1EEEvT0_T1_SA_,"axG",@progbits,_ZN6thrust23THRUST_200600_302600_NS11hip_rocprim14__parallel_for6kernelILj256ENS1_20__uninitialized_fill7functorINS0_10device_ptrIiEEiEEmLj1EEEvT0_T1_SA_,comdat
	.protected	_ZN6thrust23THRUST_200600_302600_NS11hip_rocprim14__parallel_for6kernelILj256ENS1_20__uninitialized_fill7functorINS0_10device_ptrIiEEiEEmLj1EEEvT0_T1_SA_ ; -- Begin function _ZN6thrust23THRUST_200600_302600_NS11hip_rocprim14__parallel_for6kernelILj256ENS1_20__uninitialized_fill7functorINS0_10device_ptrIiEEiEEmLj1EEEvT0_T1_SA_
	.globl	_ZN6thrust23THRUST_200600_302600_NS11hip_rocprim14__parallel_for6kernelILj256ENS1_20__uninitialized_fill7functorINS0_10device_ptrIiEEiEEmLj1EEEvT0_T1_SA_
	.p2align	8
	.type	_ZN6thrust23THRUST_200600_302600_NS11hip_rocprim14__parallel_for6kernelILj256ENS1_20__uninitialized_fill7functorINS0_10device_ptrIiEEiEEmLj1EEEvT0_T1_SA_,@function
_ZN6thrust23THRUST_200600_302600_NS11hip_rocprim14__parallel_for6kernelILj256ENS1_20__uninitialized_fill7functorINS0_10device_ptrIiEEiEEmLj1EEEvT0_T1_SA_: ; @_ZN6thrust23THRUST_200600_302600_NS11hip_rocprim14__parallel_for6kernelILj256ENS1_20__uninitialized_fill7functorINS0_10device_ptrIiEEiEEmLj1EEEvT0_T1_SA_
; %bb.0:
	s_load_dwordx4 s[8:11], s[4:5], 0x10
	s_lshl_b32 s0, s6, 8
	v_mov_b32_e32 v2, 0x100
	v_mov_b32_e32 v3, 0
	s_waitcnt lgkmcnt(0)
	s_add_u32 s0, s0, s10
	s_addc_u32 s1, 0, s11
	s_sub_u32 s2, s8, s0
	s_subb_u32 s3, s9, s1
	v_cmp_lt_u64_e32 vcc, s[2:3], v[2:3]
	s_cbranch_vccz .LBB0_2
; %bb.1:
	v_cmp_gt_u32_e32 vcc, s2, v0
	s_and_b64 s[2:3], vcc, exec
	s_cbranch_execz .LBB0_3
	s_branch .LBB0_4
.LBB0_2:
	s_mov_b64 s[2:3], 0
.LBB0_3:
	s_or_b64 s[2:3], s[2:3], exec
.LBB0_4:
	s_and_saveexec_b64 s[6:7], s[2:3]
	s_cbranch_execnz .LBB0_6
; %bb.5:
	s_endpgm
.LBB0_6:
	s_load_dwordx2 s[2:3], s[4:5], 0x0
	s_load_dword s6, s[4:5], 0x8
	s_lshl_b64 s[0:1], s[0:1], 2
	v_mov_b32_e32 v1, 0
	v_lshlrev_b64 v[0:1], 2, v[0:1]
	s_waitcnt lgkmcnt(0)
	s_add_u32 s0, s2, s0
	s_addc_u32 s1, s3, s1
	v_mov_b32_e32 v2, s1
	v_add_co_u32_e32 v0, vcc, s0, v0
	v_addc_co_u32_e32 v1, vcc, v2, v1, vcc
	v_mov_b32_e32 v2, s6
	flat_store_dword v[0:1], v2
	s_endpgm
	.section	.rodata,"a",@progbits
	.p2align	6, 0x0
	.amdhsa_kernel _ZN6thrust23THRUST_200600_302600_NS11hip_rocprim14__parallel_for6kernelILj256ENS1_20__uninitialized_fill7functorINS0_10device_ptrIiEEiEEmLj1EEEvT0_T1_SA_
		.amdhsa_group_segment_fixed_size 0
		.amdhsa_private_segment_fixed_size 0
		.amdhsa_kernarg_size 32
		.amdhsa_user_sgpr_count 6
		.amdhsa_user_sgpr_private_segment_buffer 1
		.amdhsa_user_sgpr_dispatch_ptr 0
		.amdhsa_user_sgpr_queue_ptr 0
		.amdhsa_user_sgpr_kernarg_segment_ptr 1
		.amdhsa_user_sgpr_dispatch_id 0
		.amdhsa_user_sgpr_flat_scratch_init 0
		.amdhsa_user_sgpr_kernarg_preload_length 0
		.amdhsa_user_sgpr_kernarg_preload_offset 0
		.amdhsa_user_sgpr_private_segment_size 0
		.amdhsa_uses_dynamic_stack 0
		.amdhsa_system_sgpr_private_segment_wavefront_offset 0
		.amdhsa_system_sgpr_workgroup_id_x 1
		.amdhsa_system_sgpr_workgroup_id_y 0
		.amdhsa_system_sgpr_workgroup_id_z 0
		.amdhsa_system_sgpr_workgroup_info 0
		.amdhsa_system_vgpr_workitem_id 0
		.amdhsa_next_free_vgpr 4
		.amdhsa_next_free_sgpr 12
		.amdhsa_accum_offset 4
		.amdhsa_reserve_vcc 1
		.amdhsa_reserve_flat_scratch 0
		.amdhsa_float_round_mode_32 0
		.amdhsa_float_round_mode_16_64 0
		.amdhsa_float_denorm_mode_32 3
		.amdhsa_float_denorm_mode_16_64 3
		.amdhsa_dx10_clamp 1
		.amdhsa_ieee_mode 1
		.amdhsa_fp16_overflow 0
		.amdhsa_tg_split 0
		.amdhsa_exception_fp_ieee_invalid_op 0
		.amdhsa_exception_fp_denorm_src 0
		.amdhsa_exception_fp_ieee_div_zero 0
		.amdhsa_exception_fp_ieee_overflow 0
		.amdhsa_exception_fp_ieee_underflow 0
		.amdhsa_exception_fp_ieee_inexact 0
		.amdhsa_exception_int_div_zero 0
	.end_amdhsa_kernel
	.section	.text._ZN6thrust23THRUST_200600_302600_NS11hip_rocprim14__parallel_for6kernelILj256ENS1_20__uninitialized_fill7functorINS0_10device_ptrIiEEiEEmLj1EEEvT0_T1_SA_,"axG",@progbits,_ZN6thrust23THRUST_200600_302600_NS11hip_rocprim14__parallel_for6kernelILj256ENS1_20__uninitialized_fill7functorINS0_10device_ptrIiEEiEEmLj1EEEvT0_T1_SA_,comdat
.Lfunc_end0:
	.size	_ZN6thrust23THRUST_200600_302600_NS11hip_rocprim14__parallel_for6kernelILj256ENS1_20__uninitialized_fill7functorINS0_10device_ptrIiEEiEEmLj1EEEvT0_T1_SA_, .Lfunc_end0-_ZN6thrust23THRUST_200600_302600_NS11hip_rocprim14__parallel_for6kernelILj256ENS1_20__uninitialized_fill7functorINS0_10device_ptrIiEEiEEmLj1EEEvT0_T1_SA_
                                        ; -- End function
	.section	.AMDGPU.csdata,"",@progbits
; Kernel info:
; codeLenInByte = 160
; NumSgprs: 16
; NumVgprs: 4
; NumAgprs: 0
; TotalNumVgprs: 4
; ScratchSize: 0
; MemoryBound: 0
; FloatMode: 240
; IeeeMode: 1
; LDSByteSize: 0 bytes/workgroup (compile time only)
; SGPRBlocks: 1
; VGPRBlocks: 0
; NumSGPRsForWavesPerEU: 16
; NumVGPRsForWavesPerEU: 4
; AccumOffset: 4
; Occupancy: 8
; WaveLimiterHint : 0
; COMPUTE_PGM_RSRC2:SCRATCH_EN: 0
; COMPUTE_PGM_RSRC2:USER_SGPR: 6
; COMPUTE_PGM_RSRC2:TRAP_HANDLER: 0
; COMPUTE_PGM_RSRC2:TGID_X_EN: 1
; COMPUTE_PGM_RSRC2:TGID_Y_EN: 0
; COMPUTE_PGM_RSRC2:TGID_Z_EN: 0
; COMPUTE_PGM_RSRC2:TIDIG_COMP_CNT: 0
; COMPUTE_PGM_RSRC3_GFX90A:ACCUM_OFFSET: 0
; COMPUTE_PGM_RSRC3_GFX90A:TG_SPLIT: 0
	.section	.text._ZN7rocprim17ROCPRIM_400000_NS6detail30init_device_scan_by_key_kernelINS1_19lookback_scan_stateINS0_5tupleIJibEEELb0ELb1EEEN6thrust23THRUST_200600_302600_NS18transform_iteratorI9row_indexNS8_17counting_iteratorImNS8_11use_defaultESC_SC_EESC_SC_EEjNS1_16block_id_wrapperIjLb0EEEEEvT_jjPNSH_10value_typeET0_PNSt15iterator_traitsISK_E10value_typeEmT1_T2_,"axG",@progbits,_ZN7rocprim17ROCPRIM_400000_NS6detail30init_device_scan_by_key_kernelINS1_19lookback_scan_stateINS0_5tupleIJibEEELb0ELb1EEEN6thrust23THRUST_200600_302600_NS18transform_iteratorI9row_indexNS8_17counting_iteratorImNS8_11use_defaultESC_SC_EESC_SC_EEjNS1_16block_id_wrapperIjLb0EEEEEvT_jjPNSH_10value_typeET0_PNSt15iterator_traitsISK_E10value_typeEmT1_T2_,comdat
	.protected	_ZN7rocprim17ROCPRIM_400000_NS6detail30init_device_scan_by_key_kernelINS1_19lookback_scan_stateINS0_5tupleIJibEEELb0ELb1EEEN6thrust23THRUST_200600_302600_NS18transform_iteratorI9row_indexNS8_17counting_iteratorImNS8_11use_defaultESC_SC_EESC_SC_EEjNS1_16block_id_wrapperIjLb0EEEEEvT_jjPNSH_10value_typeET0_PNSt15iterator_traitsISK_E10value_typeEmT1_T2_ ; -- Begin function _ZN7rocprim17ROCPRIM_400000_NS6detail30init_device_scan_by_key_kernelINS1_19lookback_scan_stateINS0_5tupleIJibEEELb0ELb1EEEN6thrust23THRUST_200600_302600_NS18transform_iteratorI9row_indexNS8_17counting_iteratorImNS8_11use_defaultESC_SC_EESC_SC_EEjNS1_16block_id_wrapperIjLb0EEEEEvT_jjPNSH_10value_typeET0_PNSt15iterator_traitsISK_E10value_typeEmT1_T2_
	.globl	_ZN7rocprim17ROCPRIM_400000_NS6detail30init_device_scan_by_key_kernelINS1_19lookback_scan_stateINS0_5tupleIJibEEELb0ELb1EEEN6thrust23THRUST_200600_302600_NS18transform_iteratorI9row_indexNS8_17counting_iteratorImNS8_11use_defaultESC_SC_EESC_SC_EEjNS1_16block_id_wrapperIjLb0EEEEEvT_jjPNSH_10value_typeET0_PNSt15iterator_traitsISK_E10value_typeEmT1_T2_
	.p2align	8
	.type	_ZN7rocprim17ROCPRIM_400000_NS6detail30init_device_scan_by_key_kernelINS1_19lookback_scan_stateINS0_5tupleIJibEEELb0ELb1EEEN6thrust23THRUST_200600_302600_NS18transform_iteratorI9row_indexNS8_17counting_iteratorImNS8_11use_defaultESC_SC_EESC_SC_EEjNS1_16block_id_wrapperIjLb0EEEEEvT_jjPNSH_10value_typeET0_PNSt15iterator_traitsISK_E10value_typeEmT1_T2_,@function
_ZN7rocprim17ROCPRIM_400000_NS6detail30init_device_scan_by_key_kernelINS1_19lookback_scan_stateINS0_5tupleIJibEEELb0ELb1EEEN6thrust23THRUST_200600_302600_NS18transform_iteratorI9row_indexNS8_17counting_iteratorImNS8_11use_defaultESC_SC_EESC_SC_EEjNS1_16block_id_wrapperIjLb0EEEEEvT_jjPNSH_10value_typeET0_PNSt15iterator_traitsISK_E10value_typeEmT1_T2_: ; @_ZN7rocprim17ROCPRIM_400000_NS6detail30init_device_scan_by_key_kernelINS1_19lookback_scan_stateINS0_5tupleIJibEEELb0ELb1EEEN6thrust23THRUST_200600_302600_NS18transform_iteratorI9row_indexNS8_17counting_iteratorImNS8_11use_defaultESC_SC_EESC_SC_EEjNS1_16block_id_wrapperIjLb0EEEEEvT_jjPNSH_10value_typeET0_PNSt15iterator_traitsISK_E10value_typeEmT1_T2_
; %bb.0:
	s_load_dword s0, s[4:5], 0x4c
	s_load_dwordx8 s[8:15], s[4:5], 0x0
	s_load_dword s18, s[4:5], 0x40
	s_waitcnt lgkmcnt(0)
	s_and_b32 s19, s0, 0xffff
	s_mul_i32 s6, s6, s19
	s_cmp_eq_u64 s[12:13], 0
	v_add_u32_e32 v4, s6, v0
	s_cbranch_scc1 .LBB1_8
; %bb.1:
	s_cmp_lt_u32 s11, s10
	s_cselect_b32 s0, s11, 0
	s_mov_b32 s3, 0
	v_cmp_eq_u32_e32 vcc, s0, v4
	s_and_saveexec_b64 s[0:1], vcc
	s_cbranch_execz .LBB1_7
; %bb.2:
	s_add_i32 s2, s11, 64
	s_lshl_b64 s[2:3], s[2:3], 4
	s_add_u32 s16, s8, s2
	s_addc_u32 s17, s9, s3
	v_pk_mov_b32 v[0:1], s[16:17], s[16:17] op_sel:[0,1]
	;;#ASMSTART
	global_load_dwordx4 v[0:3], v[0:1] off glc	
s_waitcnt vmcnt(0)
	;;#ASMEND
	v_mov_b32_e32 v7, 0
	v_and_b32_e32 v6, 0xff, v2
	s_mov_b64 s[6:7], 0
	v_cmp_eq_u64_e32 vcc, 0, v[6:7]
	s_and_saveexec_b64 s[2:3], vcc
	s_cbranch_execz .LBB1_6
; %bb.3:
	v_pk_mov_b32 v[8:9], s[16:17], s[16:17] op_sel:[0,1]
.LBB1_4:                                ; =>This Inner Loop Header: Depth=1
	;;#ASMSTART
	global_load_dwordx4 v[0:3], v[8:9] off glc	
s_waitcnt vmcnt(0)
	;;#ASMEND
	v_and_b32_e32 v6, 0xff, v2
	v_cmp_ne_u64_e32 vcc, 0, v[6:7]
	s_or_b64 s[6:7], vcc, s[6:7]
	s_andn2_b64 exec, exec, s[6:7]
	s_cbranch_execnz .LBB1_4
; %bb.5:
	s_or_b64 exec, exec, s[6:7]
.LBB1_6:
	s_or_b64 exec, exec, s[2:3]
	v_mov_b32_e32 v2, 0
	global_store_dword v2, v0, s[12:13]
	global_store_byte v2, v1, s[12:13] offset:4
.LBB1_7:
	s_or_b64 exec, exec, s[0:1]
.LBB1_8:
	v_cmp_gt_u32_e32 vcc, s10, v4
	s_and_saveexec_b64 s[0:1], vcc
	s_cbranch_execz .LBB1_10
; %bb.9:
	v_add_u32_e32 v0, 64, v4
	v_mov_b32_e32 v1, 0
	v_lshlrev_b64 v[2:3], 4, v[0:1]
	v_mov_b32_e32 v0, s9
	v_add_co_u32_e32 v6, vcc, s8, v2
	v_addc_co_u32_e32 v7, vcc, v0, v3, vcc
	v_mov_b32_e32 v0, v1
	v_mov_b32_e32 v2, v1
	;; [unrolled: 1-line block ×3, first 2 shown]
	global_store_dwordx4 v[6:7], v[0:3], off
.LBB1_10:
	s_or_b64 exec, exec, s[0:1]
	v_cmp_gt_u32_e32 vcc, 64, v4
	v_mov_b32_e32 v5, 0
	s_and_saveexec_b64 s[0:1], vcc
	s_cbranch_execz .LBB1_12
; %bb.11:
	v_lshlrev_b64 v[0:1], 4, v[4:5]
	v_mov_b32_e32 v2, s9
	v_add_co_u32_e32 v6, vcc, s8, v0
	v_addc_co_u32_e32 v7, vcc, v2, v1, vcc
	v_mov_b32_e32 v2, 0xff
	v_mov_b32_e32 v0, v5
	;; [unrolled: 1-line block ×4, first 2 shown]
	global_store_dwordx4 v[6:7], v[0:3], off
.LBB1_12:
	s_or_b64 exec, exec, s[0:1]
	s_load_dwordx2 s[2:3], s[4:5], 0x30
	s_waitcnt lgkmcnt(0)
	v_cmp_gt_u64_e32 vcc, s[2:3], v[4:5]
	s_and_saveexec_b64 s[0:1], vcc
	s_cbranch_execz .LBB1_19
; %bb.13:
	s_load_dword s6, s[4:5], 0x38
	s_load_dwordx4 s[8:11], s[4:5], 0x20
	v_lshlrev_b64 v[2:3], 3, v[4:5]
	s_mul_i32 s4, s18, s19
	s_mov_b32 s5, 0
	s_waitcnt lgkmcnt(0)
	s_add_i32 s0, s6, -1
	v_cvt_f32_u32_e32 v6, s8
	v_cvt_f32_u32_e32 v7, s9
	v_mov_b32_e32 v8, s11
	v_add_co_u32_e32 v2, vcc, s10, v2
	v_madmk_f32 v6, v7, 0x4f800000, v6
	v_rcp_f32_e32 v6, v6
	v_cvt_f32_u32_e32 v7, s8
	v_addc_co_u32_e32 v3, vcc, v8, v3, vcc
	v_mul_f32_e32 v6, 0x5f7ffffc, v6
	v_rcp_iflag_f32_e32 v7, v7
	v_mul_f32_e32 v8, 0x2f800000, v6
	v_trunc_f32_e32 v8, v8
	v_madmk_f32 v6, v8, 0xcf800000, v6
	v_cvt_u32_f32_e32 v10, v6
	v_mul_f32_e32 v6, 0x4f7ffffe, v7
	s_add_u32 s0, s0, s14
	v_cvt_u32_f32_e32 v11, v8
	v_cvt_u32_f32_e32 v12, v6
	s_addc_u32 s1, 0, s15
	v_pk_mov_b32 v[0:1], s[0:1], s[0:1] op_sel:[0,1]
	v_mad_u64_u32 v[0:1], s[0:1], s6, v4, v[0:1]
	s_mul_hi_u32 s14, s6, s4
	s_mul_i32 s15, s6, s4
	s_lshl_b64 s[6:7], s[4:5], 3
	s_mov_b64 s[10:11], 0
	v_mov_b32_e32 v6, 0
	s_branch .LBB1_15
.LBB1_14:                               ;   in Loop: Header=BB1_15 Depth=1
	s_or_b64 exec, exec, s[0:1]
	v_mov_b32_e32 v7, s5
	v_add_co_u32_e32 v4, vcc, s4, v4
	v_addc_co_u32_e32 v5, vcc, v5, v7, vcc
	v_mov_b32_e32 v7, s14
	v_add_co_u32_e32 v0, vcc, s15, v0
	v_addc_co_u32_e32 v1, vcc, v1, v7, vcc
	v_cmp_le_u64_e32 vcc, s[2:3], v[4:5]
	global_store_dwordx2 v[2:3], v[8:9], off
	v_mov_b32_e32 v7, s7
	s_or_b64 s[10:11], vcc, s[10:11]
	v_add_co_u32_e32 v2, vcc, s6, v2
	v_addc_co_u32_e32 v3, vcc, v3, v7, vcc
	s_andn2_b64 exec, exec, s[10:11]
	s_cbranch_execz .LBB1_19
.LBB1_15:                               ; =>This Inner Loop Header: Depth=1
	v_or_b32_e32 v7, s9, v1
	v_cmp_ne_u64_e32 vcc, 0, v[6:7]
                                        ; implicit-def: $vgpr8_vgpr9
	s_and_saveexec_b64 s[0:1], vcc
	s_xor_b64 s[12:13], exec, s[0:1]
	s_cbranch_execz .LBB1_17
; %bb.16:                               ;   in Loop: Header=BB1_15 Depth=1
	s_sub_u32 s0, 0, s8
	s_subb_u32 s1, 0, s9
	v_mul_hi_u32 v8, s0, v10
	v_mul_lo_u32 v9, s0, v11
	v_mul_lo_u32 v7, s1, v10
	v_add_u32_e32 v8, v8, v9
	v_add_u32_e32 v7, v8, v7
	v_mul_lo_u32 v13, s0, v10
	v_mul_lo_u32 v9, v10, v7
	v_mul_hi_u32 v14, v10, v13
	v_mul_hi_u32 v8, v10, v7
	v_add_co_u32_e32 v9, vcc, v14, v9
	v_addc_co_u32_e32 v8, vcc, 0, v8, vcc
	v_mul_hi_u32 v15, v11, v13
	v_mul_lo_u32 v13, v11, v13
	v_add_co_u32_e32 v9, vcc, v9, v13
	v_mul_hi_u32 v14, v11, v7
	v_addc_co_u32_e32 v8, vcc, v8, v15, vcc
	v_addc_co_u32_e32 v9, vcc, 0, v14, vcc
	v_mul_lo_u32 v7, v11, v7
	v_add_co_u32_e32 v7, vcc, v8, v7
	v_addc_co_u32_e32 v8, vcc, 0, v9, vcc
	v_add_co_u32_e32 v7, vcc, v10, v7
	v_addc_co_u32_e32 v8, vcc, v11, v8, vcc
	v_mul_lo_u32 v9, s0, v8
	v_mul_hi_u32 v13, s0, v7
	v_add_u32_e32 v9, v13, v9
	v_mul_lo_u32 v13, s1, v7
	v_add_u32_e32 v9, v9, v13
	v_mul_lo_u32 v14, s0, v7
	v_mul_hi_u32 v15, v8, v14
	v_mul_lo_u32 v16, v8, v14
	v_mul_lo_u32 v18, v7, v9
	v_mul_hi_u32 v14, v7, v14
	v_mul_hi_u32 v17, v7, v9
	v_add_co_u32_e32 v14, vcc, v14, v18
	v_addc_co_u32_e32 v17, vcc, 0, v17, vcc
	v_add_co_u32_e32 v14, vcc, v14, v16
	v_mul_hi_u32 v13, v8, v9
	v_addc_co_u32_e32 v14, vcc, v17, v15, vcc
	v_addc_co_u32_e32 v13, vcc, 0, v13, vcc
	v_mul_lo_u32 v9, v8, v9
	v_add_co_u32_e32 v9, vcc, v14, v9
	v_addc_co_u32_e32 v13, vcc, 0, v13, vcc
	v_add_co_u32_e32 v7, vcc, v7, v9
	v_addc_co_u32_e32 v13, vcc, v8, v13, vcc
	v_mad_u64_u32 v[8:9], s[0:1], v0, v13, 0
	v_mul_hi_u32 v14, v0, v7
	v_add_co_u32_e32 v16, vcc, v14, v8
	v_addc_co_u32_e32 v17, vcc, 0, v9, vcc
	v_mad_u64_u32 v[14:15], s[0:1], v1, v7, 0
	v_add_co_u32_e32 v7, vcc, v16, v14
	v_mad_u64_u32 v[8:9], s[0:1], v1, v13, 0
	v_addc_co_u32_e32 v7, vcc, v17, v15, vcc
	v_addc_co_u32_e32 v9, vcc, 0, v9, vcc
	v_add_co_u32_e32 v7, vcc, v7, v8
	v_addc_co_u32_e32 v13, vcc, 0, v9, vcc
	v_mul_lo_u32 v14, s9, v7
	v_mul_lo_u32 v15, s8, v13
	v_mad_u64_u32 v[8:9], s[0:1], s8, v7, 0
	v_add3_u32 v9, v9, v15, v14
	v_sub_u32_e32 v14, v1, v9
	v_mov_b32_e32 v15, s9
	v_sub_co_u32_e32 v8, vcc, v0, v8
	v_subb_co_u32_e64 v14, s[0:1], v14, v15, vcc
	v_subrev_co_u32_e64 v15, s[0:1], s8, v8
	v_subbrev_co_u32_e64 v14, s[0:1], 0, v14, s[0:1]
	v_cmp_le_u32_e64 s[0:1], s9, v14
	v_cndmask_b32_e64 v16, 0, -1, s[0:1]
	v_cmp_le_u32_e64 s[0:1], s8, v15
	v_cndmask_b32_e64 v15, 0, -1, s[0:1]
	v_cmp_eq_u32_e64 s[0:1], s9, v14
	v_cndmask_b32_e64 v14, v16, v15, s[0:1]
	v_add_co_u32_e64 v15, s[0:1], 2, v7
	v_addc_co_u32_e64 v16, s[0:1], 0, v13, s[0:1]
	v_add_co_u32_e64 v17, s[0:1], 1, v7
	v_addc_co_u32_e64 v18, s[0:1], 0, v13, s[0:1]
	v_subb_co_u32_e32 v9, vcc, v1, v9, vcc
	v_cmp_ne_u32_e64 s[0:1], 0, v14
	v_cmp_le_u32_e32 vcc, s9, v9
	v_cndmask_b32_e64 v14, v18, v16, s[0:1]
	v_cndmask_b32_e64 v16, 0, -1, vcc
	v_cmp_le_u32_e32 vcc, s8, v8
	v_cndmask_b32_e64 v8, 0, -1, vcc
	v_cmp_eq_u32_e32 vcc, s9, v9
	v_cndmask_b32_e32 v8, v16, v8, vcc
	v_cmp_ne_u32_e32 vcc, 0, v8
	v_cndmask_b32_e64 v8, v17, v15, s[0:1]
	v_cndmask_b32_e32 v9, v13, v14, vcc
	v_cndmask_b32_e32 v8, v7, v8, vcc
.LBB1_17:                               ;   in Loop: Header=BB1_15 Depth=1
	s_andn2_saveexec_b64 s[0:1], s[12:13]
	s_cbranch_execz .LBB1_14
; %bb.18:                               ;   in Loop: Header=BB1_15 Depth=1
	s_sub_i32 s12, 0, s8
	v_mul_lo_u32 v7, s12, v12
	v_mul_hi_u32 v7, v12, v7
	v_add_u32_e32 v7, v12, v7
	v_mul_hi_u32 v7, v0, v7
	v_mul_lo_u32 v8, v7, s8
	v_sub_u32_e32 v8, v0, v8
	v_subrev_u32_e32 v9, s8, v8
	v_cmp_le_u32_e32 vcc, s8, v8
	v_cndmask_b32_e32 v8, v8, v9, vcc
	v_add_u32_e32 v9, 1, v7
	v_cndmask_b32_e32 v7, v7, v9, vcc
	v_add_u32_e32 v9, 1, v7
	v_cmp_le_u32_e32 vcc, s8, v8
	v_cndmask_b32_e32 v8, v7, v9, vcc
	v_mov_b32_e32 v9, v6
	s_branch .LBB1_14
.LBB1_19:
	s_endpgm
	.section	.rodata,"a",@progbits
	.p2align	6, 0x0
	.amdhsa_kernel _ZN7rocprim17ROCPRIM_400000_NS6detail30init_device_scan_by_key_kernelINS1_19lookback_scan_stateINS0_5tupleIJibEEELb0ELb1EEEN6thrust23THRUST_200600_302600_NS18transform_iteratorI9row_indexNS8_17counting_iteratorImNS8_11use_defaultESC_SC_EESC_SC_EEjNS1_16block_id_wrapperIjLb0EEEEEvT_jjPNSH_10value_typeET0_PNSt15iterator_traitsISK_E10value_typeEmT1_T2_
		.amdhsa_group_segment_fixed_size 0
		.amdhsa_private_segment_fixed_size 0
		.amdhsa_kernarg_size 320
		.amdhsa_user_sgpr_count 6
		.amdhsa_user_sgpr_private_segment_buffer 1
		.amdhsa_user_sgpr_dispatch_ptr 0
		.amdhsa_user_sgpr_queue_ptr 0
		.amdhsa_user_sgpr_kernarg_segment_ptr 1
		.amdhsa_user_sgpr_dispatch_id 0
		.amdhsa_user_sgpr_flat_scratch_init 0
		.amdhsa_user_sgpr_kernarg_preload_length 0
		.amdhsa_user_sgpr_kernarg_preload_offset 0
		.amdhsa_user_sgpr_private_segment_size 0
		.amdhsa_uses_dynamic_stack 0
		.amdhsa_system_sgpr_private_segment_wavefront_offset 0
		.amdhsa_system_sgpr_workgroup_id_x 1
		.amdhsa_system_sgpr_workgroup_id_y 0
		.amdhsa_system_sgpr_workgroup_id_z 0
		.amdhsa_system_sgpr_workgroup_info 0
		.amdhsa_system_vgpr_workitem_id 0
		.amdhsa_next_free_vgpr 19
		.amdhsa_next_free_sgpr 20
		.amdhsa_accum_offset 20
		.amdhsa_reserve_vcc 1
		.amdhsa_reserve_flat_scratch 0
		.amdhsa_float_round_mode_32 0
		.amdhsa_float_round_mode_16_64 0
		.amdhsa_float_denorm_mode_32 3
		.amdhsa_float_denorm_mode_16_64 3
		.amdhsa_dx10_clamp 1
		.amdhsa_ieee_mode 1
		.amdhsa_fp16_overflow 0
		.amdhsa_tg_split 0
		.amdhsa_exception_fp_ieee_invalid_op 0
		.amdhsa_exception_fp_denorm_src 0
		.amdhsa_exception_fp_ieee_div_zero 0
		.amdhsa_exception_fp_ieee_overflow 0
		.amdhsa_exception_fp_ieee_underflow 0
		.amdhsa_exception_fp_ieee_inexact 0
		.amdhsa_exception_int_div_zero 0
	.end_amdhsa_kernel
	.section	.text._ZN7rocprim17ROCPRIM_400000_NS6detail30init_device_scan_by_key_kernelINS1_19lookback_scan_stateINS0_5tupleIJibEEELb0ELb1EEEN6thrust23THRUST_200600_302600_NS18transform_iteratorI9row_indexNS8_17counting_iteratorImNS8_11use_defaultESC_SC_EESC_SC_EEjNS1_16block_id_wrapperIjLb0EEEEEvT_jjPNSH_10value_typeET0_PNSt15iterator_traitsISK_E10value_typeEmT1_T2_,"axG",@progbits,_ZN7rocprim17ROCPRIM_400000_NS6detail30init_device_scan_by_key_kernelINS1_19lookback_scan_stateINS0_5tupleIJibEEELb0ELb1EEEN6thrust23THRUST_200600_302600_NS18transform_iteratorI9row_indexNS8_17counting_iteratorImNS8_11use_defaultESC_SC_EESC_SC_EEjNS1_16block_id_wrapperIjLb0EEEEEvT_jjPNSH_10value_typeET0_PNSt15iterator_traitsISK_E10value_typeEmT1_T2_,comdat
.Lfunc_end1:
	.size	_ZN7rocprim17ROCPRIM_400000_NS6detail30init_device_scan_by_key_kernelINS1_19lookback_scan_stateINS0_5tupleIJibEEELb0ELb1EEEN6thrust23THRUST_200600_302600_NS18transform_iteratorI9row_indexNS8_17counting_iteratorImNS8_11use_defaultESC_SC_EESC_SC_EEjNS1_16block_id_wrapperIjLb0EEEEEvT_jjPNSH_10value_typeET0_PNSt15iterator_traitsISK_E10value_typeEmT1_T2_, .Lfunc_end1-_ZN7rocprim17ROCPRIM_400000_NS6detail30init_device_scan_by_key_kernelINS1_19lookback_scan_stateINS0_5tupleIJibEEELb0ELb1EEEN6thrust23THRUST_200600_302600_NS18transform_iteratorI9row_indexNS8_17counting_iteratorImNS8_11use_defaultESC_SC_EESC_SC_EEjNS1_16block_id_wrapperIjLb0EEEEEvT_jjPNSH_10value_typeET0_PNSt15iterator_traitsISK_E10value_typeEmT1_T2_
                                        ; -- End function
	.section	.AMDGPU.csdata,"",@progbits
; Kernel info:
; codeLenInByte = 1296
; NumSgprs: 24
; NumVgprs: 19
; NumAgprs: 0
; TotalNumVgprs: 19
; ScratchSize: 0
; MemoryBound: 0
; FloatMode: 240
; IeeeMode: 1
; LDSByteSize: 0 bytes/workgroup (compile time only)
; SGPRBlocks: 2
; VGPRBlocks: 2
; NumSGPRsForWavesPerEU: 24
; NumVGPRsForWavesPerEU: 19
; AccumOffset: 20
; Occupancy: 8
; WaveLimiterHint : 0
; COMPUTE_PGM_RSRC2:SCRATCH_EN: 0
; COMPUTE_PGM_RSRC2:USER_SGPR: 6
; COMPUTE_PGM_RSRC2:TRAP_HANDLER: 0
; COMPUTE_PGM_RSRC2:TGID_X_EN: 1
; COMPUTE_PGM_RSRC2:TGID_Y_EN: 0
; COMPUTE_PGM_RSRC2:TGID_Z_EN: 0
; COMPUTE_PGM_RSRC2:TIDIG_COMP_CNT: 0
; COMPUTE_PGM_RSRC3_GFX90A:ACCUM_OFFSET: 4
; COMPUTE_PGM_RSRC3_GFX90A:TG_SPLIT: 0
	.section	.text._ZN7rocprim17ROCPRIM_400000_NS6detail30init_device_scan_by_key_kernelINS1_19lookback_scan_stateINS0_5tupleIJibEEELb0ELb1EEENS1_16block_id_wrapperIjLb0EEEEEvT_jjPNS9_10value_typeET0_,"axG",@progbits,_ZN7rocprim17ROCPRIM_400000_NS6detail30init_device_scan_by_key_kernelINS1_19lookback_scan_stateINS0_5tupleIJibEEELb0ELb1EEENS1_16block_id_wrapperIjLb0EEEEEvT_jjPNS9_10value_typeET0_,comdat
	.protected	_ZN7rocprim17ROCPRIM_400000_NS6detail30init_device_scan_by_key_kernelINS1_19lookback_scan_stateINS0_5tupleIJibEEELb0ELb1EEENS1_16block_id_wrapperIjLb0EEEEEvT_jjPNS9_10value_typeET0_ ; -- Begin function _ZN7rocprim17ROCPRIM_400000_NS6detail30init_device_scan_by_key_kernelINS1_19lookback_scan_stateINS0_5tupleIJibEEELb0ELb1EEENS1_16block_id_wrapperIjLb0EEEEEvT_jjPNS9_10value_typeET0_
	.globl	_ZN7rocprim17ROCPRIM_400000_NS6detail30init_device_scan_by_key_kernelINS1_19lookback_scan_stateINS0_5tupleIJibEEELb0ELb1EEENS1_16block_id_wrapperIjLb0EEEEEvT_jjPNS9_10value_typeET0_
	.p2align	8
	.type	_ZN7rocprim17ROCPRIM_400000_NS6detail30init_device_scan_by_key_kernelINS1_19lookback_scan_stateINS0_5tupleIJibEEELb0ELb1EEENS1_16block_id_wrapperIjLb0EEEEEvT_jjPNS9_10value_typeET0_,@function
_ZN7rocprim17ROCPRIM_400000_NS6detail30init_device_scan_by_key_kernelINS1_19lookback_scan_stateINS0_5tupleIJibEEELb0ELb1EEENS1_16block_id_wrapperIjLb0EEEEEvT_jjPNS9_10value_typeET0_: ; @_ZN7rocprim17ROCPRIM_400000_NS6detail30init_device_scan_by_key_kernelINS1_19lookback_scan_stateINS0_5tupleIJibEEELb0ELb1EEENS1_16block_id_wrapperIjLb0EEEEEvT_jjPNS9_10value_typeET0_
; %bb.0:
	s_load_dword s7, s[4:5], 0x2c
	s_load_dwordx2 s[8:9], s[4:5], 0x10
	s_load_dwordx4 s[0:3], s[4:5], 0x0
	s_waitcnt lgkmcnt(0)
	s_and_b32 s4, s7, 0xffff
	s_mul_i32 s6, s6, s4
	s_cmp_eq_u64 s[8:9], 0
	v_add_u32_e32 v0, s6, v0
	s_cbranch_scc1 .LBB2_8
; %bb.1:
	s_cmp_lt_u32 s3, s2
	s_cselect_b32 s4, s3, 0
	s_mov_b32 s7, 0
	v_cmp_eq_u32_e32 vcc, s4, v0
	s_and_saveexec_b64 s[4:5], vcc
	s_cbranch_execz .LBB2_7
; %bb.2:
	s_add_i32 s6, s3, 64
	s_lshl_b64 s[6:7], s[6:7], 4
	s_add_u32 s12, s0, s6
	s_addc_u32 s13, s1, s7
	v_pk_mov_b32 v[2:3], s[12:13], s[12:13] op_sel:[0,1]
	;;#ASMSTART
	global_load_dwordx4 v[2:5], v[2:3] off glc	
s_waitcnt vmcnt(0)
	;;#ASMEND
	v_mov_b32_e32 v7, 0
	v_and_b32_e32 v6, 0xff, v4
	s_mov_b64 s[10:11], 0
	v_cmp_eq_u64_e32 vcc, 0, v[6:7]
	s_and_saveexec_b64 s[6:7], vcc
	s_cbranch_execz .LBB2_6
; %bb.3:
	v_pk_mov_b32 v[8:9], s[12:13], s[12:13] op_sel:[0,1]
.LBB2_4:                                ; =>This Inner Loop Header: Depth=1
	;;#ASMSTART
	global_load_dwordx4 v[2:5], v[8:9] off glc	
s_waitcnt vmcnt(0)
	;;#ASMEND
	v_and_b32_e32 v6, 0xff, v4
	v_cmp_ne_u64_e32 vcc, 0, v[6:7]
	s_or_b64 s[10:11], vcc, s[10:11]
	s_andn2_b64 exec, exec, s[10:11]
	s_cbranch_execnz .LBB2_4
; %bb.5:
	s_or_b64 exec, exec, s[10:11]
.LBB2_6:
	s_or_b64 exec, exec, s[6:7]
	v_mov_b32_e32 v1, 0
	global_store_dword v1, v2, s[8:9]
	global_store_byte v1, v3, s[8:9] offset:4
.LBB2_7:
	s_or_b64 exec, exec, s[4:5]
.LBB2_8:
	v_cmp_gt_u32_e32 vcc, s2, v0
	s_and_saveexec_b64 s[2:3], vcc
	s_cbranch_execnz .LBB2_11
; %bb.9:
	s_or_b64 exec, exec, s[2:3]
	v_cmp_gt_u32_e32 vcc, 64, v0
	s_and_saveexec_b64 s[2:3], vcc
	s_cbranch_execnz .LBB2_12
.LBB2_10:
	s_endpgm
.LBB2_11:
	v_add_u32_e32 v2, 64, v0
	v_mov_b32_e32 v3, 0
	v_lshlrev_b64 v[4:5], 4, v[2:3]
	v_mov_b32_e32 v1, s1
	v_add_co_u32_e32 v6, vcc, s0, v4
	v_addc_co_u32_e32 v7, vcc, v1, v5, vcc
	v_mov_b32_e32 v2, v3
	v_mov_b32_e32 v4, v3
	;; [unrolled: 1-line block ×3, first 2 shown]
	global_store_dwordx4 v[6:7], v[2:5], off
	s_or_b64 exec, exec, s[2:3]
	v_cmp_gt_u32_e32 vcc, 64, v0
	s_and_saveexec_b64 s[2:3], vcc
	s_cbranch_execz .LBB2_10
.LBB2_12:
	v_mov_b32_e32 v1, 0
	v_lshlrev_b64 v[2:3], 4, v[0:1]
	v_mov_b32_e32 v0, s1
	v_add_co_u32_e32 v4, vcc, s0, v2
	v_addc_co_u32_e32 v5, vcc, v0, v3, vcc
	v_mov_b32_e32 v2, 0xff
	v_mov_b32_e32 v0, v1
	;; [unrolled: 1-line block ×3, first 2 shown]
	global_store_dwordx4 v[4:5], v[0:3], off
	s_endpgm
	.section	.rodata,"a",@progbits
	.p2align	6, 0x0
	.amdhsa_kernel _ZN7rocprim17ROCPRIM_400000_NS6detail30init_device_scan_by_key_kernelINS1_19lookback_scan_stateINS0_5tupleIJibEEELb0ELb1EEENS1_16block_id_wrapperIjLb0EEEEEvT_jjPNS9_10value_typeET0_
		.amdhsa_group_segment_fixed_size 0
		.amdhsa_private_segment_fixed_size 0
		.amdhsa_kernarg_size 288
		.amdhsa_user_sgpr_count 6
		.amdhsa_user_sgpr_private_segment_buffer 1
		.amdhsa_user_sgpr_dispatch_ptr 0
		.amdhsa_user_sgpr_queue_ptr 0
		.amdhsa_user_sgpr_kernarg_segment_ptr 1
		.amdhsa_user_sgpr_dispatch_id 0
		.amdhsa_user_sgpr_flat_scratch_init 0
		.amdhsa_user_sgpr_kernarg_preload_length 0
		.amdhsa_user_sgpr_kernarg_preload_offset 0
		.amdhsa_user_sgpr_private_segment_size 0
		.amdhsa_uses_dynamic_stack 0
		.amdhsa_system_sgpr_private_segment_wavefront_offset 0
		.amdhsa_system_sgpr_workgroup_id_x 1
		.amdhsa_system_sgpr_workgroup_id_y 0
		.amdhsa_system_sgpr_workgroup_id_z 0
		.amdhsa_system_sgpr_workgroup_info 0
		.amdhsa_system_vgpr_workitem_id 0
		.amdhsa_next_free_vgpr 10
		.amdhsa_next_free_sgpr 14
		.amdhsa_accum_offset 12
		.amdhsa_reserve_vcc 1
		.amdhsa_reserve_flat_scratch 0
		.amdhsa_float_round_mode_32 0
		.amdhsa_float_round_mode_16_64 0
		.amdhsa_float_denorm_mode_32 3
		.amdhsa_float_denorm_mode_16_64 3
		.amdhsa_dx10_clamp 1
		.amdhsa_ieee_mode 1
		.amdhsa_fp16_overflow 0
		.amdhsa_tg_split 0
		.amdhsa_exception_fp_ieee_invalid_op 0
		.amdhsa_exception_fp_denorm_src 0
		.amdhsa_exception_fp_ieee_div_zero 0
		.amdhsa_exception_fp_ieee_overflow 0
		.amdhsa_exception_fp_ieee_underflow 0
		.amdhsa_exception_fp_ieee_inexact 0
		.amdhsa_exception_int_div_zero 0
	.end_amdhsa_kernel
	.section	.text._ZN7rocprim17ROCPRIM_400000_NS6detail30init_device_scan_by_key_kernelINS1_19lookback_scan_stateINS0_5tupleIJibEEELb0ELb1EEENS1_16block_id_wrapperIjLb0EEEEEvT_jjPNS9_10value_typeET0_,"axG",@progbits,_ZN7rocprim17ROCPRIM_400000_NS6detail30init_device_scan_by_key_kernelINS1_19lookback_scan_stateINS0_5tupleIJibEEELb0ELb1EEENS1_16block_id_wrapperIjLb0EEEEEvT_jjPNS9_10value_typeET0_,comdat
.Lfunc_end2:
	.size	_ZN7rocprim17ROCPRIM_400000_NS6detail30init_device_scan_by_key_kernelINS1_19lookback_scan_stateINS0_5tupleIJibEEELb0ELb1EEENS1_16block_id_wrapperIjLb0EEEEEvT_jjPNS9_10value_typeET0_, .Lfunc_end2-_ZN7rocprim17ROCPRIM_400000_NS6detail30init_device_scan_by_key_kernelINS1_19lookback_scan_stateINS0_5tupleIJibEEELb0ELb1EEENS1_16block_id_wrapperIjLb0EEEEEvT_jjPNS9_10value_typeET0_
                                        ; -- End function
	.section	.AMDGPU.csdata,"",@progbits
; Kernel info:
; codeLenInByte = 372
; NumSgprs: 18
; NumVgprs: 10
; NumAgprs: 0
; TotalNumVgprs: 10
; ScratchSize: 0
; MemoryBound: 0
; FloatMode: 240
; IeeeMode: 1
; LDSByteSize: 0 bytes/workgroup (compile time only)
; SGPRBlocks: 2
; VGPRBlocks: 1
; NumSGPRsForWavesPerEU: 18
; NumVGPRsForWavesPerEU: 10
; AccumOffset: 12
; Occupancy: 8
; WaveLimiterHint : 0
; COMPUTE_PGM_RSRC2:SCRATCH_EN: 0
; COMPUTE_PGM_RSRC2:USER_SGPR: 6
; COMPUTE_PGM_RSRC2:TRAP_HANDLER: 0
; COMPUTE_PGM_RSRC2:TGID_X_EN: 1
; COMPUTE_PGM_RSRC2:TGID_Y_EN: 0
; COMPUTE_PGM_RSRC2:TGID_Z_EN: 0
; COMPUTE_PGM_RSRC2:TIDIG_COMP_CNT: 0
; COMPUTE_PGM_RSRC3_GFX90A:ACCUM_OFFSET: 2
; COMPUTE_PGM_RSRC3_GFX90A:TG_SPLIT: 0
	.section	.text._ZN7rocprim17ROCPRIM_400000_NS6detail17trampoline_kernelINS0_14default_configENS1_27scan_by_key_config_selectorImiEEZZNS1_16scan_by_key_implILNS1_25lookback_scan_determinismE0ELb0ES3_N6thrust23THRUST_200600_302600_NS18transform_iteratorI9row_indexNS9_17counting_iteratorImNS9_11use_defaultESD_SD_EESD_SD_EENS9_6detail15normal_iteratorINS9_10device_ptrIiEEEESK_iNS9_4plusIvEENS9_8equal_toIvEEiEE10hipError_tPvRmT2_T3_T4_T5_mT6_T7_P12ihipStream_tbENKUlT_T0_E_clISt17integral_constantIbLb0EES15_EEDaS10_S11_EUlS10_E_NS1_11comp_targetILNS1_3genE0ELNS1_11target_archE4294967295ELNS1_3gpuE0ELNS1_3repE0EEENS1_30default_config_static_selectorELNS0_4arch9wavefront6targetE1EEEvT1_,"axG",@progbits,_ZN7rocprim17ROCPRIM_400000_NS6detail17trampoline_kernelINS0_14default_configENS1_27scan_by_key_config_selectorImiEEZZNS1_16scan_by_key_implILNS1_25lookback_scan_determinismE0ELb0ES3_N6thrust23THRUST_200600_302600_NS18transform_iteratorI9row_indexNS9_17counting_iteratorImNS9_11use_defaultESD_SD_EESD_SD_EENS9_6detail15normal_iteratorINS9_10device_ptrIiEEEESK_iNS9_4plusIvEENS9_8equal_toIvEEiEE10hipError_tPvRmT2_T3_T4_T5_mT6_T7_P12ihipStream_tbENKUlT_T0_E_clISt17integral_constantIbLb0EES15_EEDaS10_S11_EUlS10_E_NS1_11comp_targetILNS1_3genE0ELNS1_11target_archE4294967295ELNS1_3gpuE0ELNS1_3repE0EEENS1_30default_config_static_selectorELNS0_4arch9wavefront6targetE1EEEvT1_,comdat
	.protected	_ZN7rocprim17ROCPRIM_400000_NS6detail17trampoline_kernelINS0_14default_configENS1_27scan_by_key_config_selectorImiEEZZNS1_16scan_by_key_implILNS1_25lookback_scan_determinismE0ELb0ES3_N6thrust23THRUST_200600_302600_NS18transform_iteratorI9row_indexNS9_17counting_iteratorImNS9_11use_defaultESD_SD_EESD_SD_EENS9_6detail15normal_iteratorINS9_10device_ptrIiEEEESK_iNS9_4plusIvEENS9_8equal_toIvEEiEE10hipError_tPvRmT2_T3_T4_T5_mT6_T7_P12ihipStream_tbENKUlT_T0_E_clISt17integral_constantIbLb0EES15_EEDaS10_S11_EUlS10_E_NS1_11comp_targetILNS1_3genE0ELNS1_11target_archE4294967295ELNS1_3gpuE0ELNS1_3repE0EEENS1_30default_config_static_selectorELNS0_4arch9wavefront6targetE1EEEvT1_ ; -- Begin function _ZN7rocprim17ROCPRIM_400000_NS6detail17trampoline_kernelINS0_14default_configENS1_27scan_by_key_config_selectorImiEEZZNS1_16scan_by_key_implILNS1_25lookback_scan_determinismE0ELb0ES3_N6thrust23THRUST_200600_302600_NS18transform_iteratorI9row_indexNS9_17counting_iteratorImNS9_11use_defaultESD_SD_EESD_SD_EENS9_6detail15normal_iteratorINS9_10device_ptrIiEEEESK_iNS9_4plusIvEENS9_8equal_toIvEEiEE10hipError_tPvRmT2_T3_T4_T5_mT6_T7_P12ihipStream_tbENKUlT_T0_E_clISt17integral_constantIbLb0EES15_EEDaS10_S11_EUlS10_E_NS1_11comp_targetILNS1_3genE0ELNS1_11target_archE4294967295ELNS1_3gpuE0ELNS1_3repE0EEENS1_30default_config_static_selectorELNS0_4arch9wavefront6targetE1EEEvT1_
	.globl	_ZN7rocprim17ROCPRIM_400000_NS6detail17trampoline_kernelINS0_14default_configENS1_27scan_by_key_config_selectorImiEEZZNS1_16scan_by_key_implILNS1_25lookback_scan_determinismE0ELb0ES3_N6thrust23THRUST_200600_302600_NS18transform_iteratorI9row_indexNS9_17counting_iteratorImNS9_11use_defaultESD_SD_EESD_SD_EENS9_6detail15normal_iteratorINS9_10device_ptrIiEEEESK_iNS9_4plusIvEENS9_8equal_toIvEEiEE10hipError_tPvRmT2_T3_T4_T5_mT6_T7_P12ihipStream_tbENKUlT_T0_E_clISt17integral_constantIbLb0EES15_EEDaS10_S11_EUlS10_E_NS1_11comp_targetILNS1_3genE0ELNS1_11target_archE4294967295ELNS1_3gpuE0ELNS1_3repE0EEENS1_30default_config_static_selectorELNS0_4arch9wavefront6targetE1EEEvT1_
	.p2align	8
	.type	_ZN7rocprim17ROCPRIM_400000_NS6detail17trampoline_kernelINS0_14default_configENS1_27scan_by_key_config_selectorImiEEZZNS1_16scan_by_key_implILNS1_25lookback_scan_determinismE0ELb0ES3_N6thrust23THRUST_200600_302600_NS18transform_iteratorI9row_indexNS9_17counting_iteratorImNS9_11use_defaultESD_SD_EESD_SD_EENS9_6detail15normal_iteratorINS9_10device_ptrIiEEEESK_iNS9_4plusIvEENS9_8equal_toIvEEiEE10hipError_tPvRmT2_T3_T4_T5_mT6_T7_P12ihipStream_tbENKUlT_T0_E_clISt17integral_constantIbLb0EES15_EEDaS10_S11_EUlS10_E_NS1_11comp_targetILNS1_3genE0ELNS1_11target_archE4294967295ELNS1_3gpuE0ELNS1_3repE0EEENS1_30default_config_static_selectorELNS0_4arch9wavefront6targetE1EEEvT1_,@function
_ZN7rocprim17ROCPRIM_400000_NS6detail17trampoline_kernelINS0_14default_configENS1_27scan_by_key_config_selectorImiEEZZNS1_16scan_by_key_implILNS1_25lookback_scan_determinismE0ELb0ES3_N6thrust23THRUST_200600_302600_NS18transform_iteratorI9row_indexNS9_17counting_iteratorImNS9_11use_defaultESD_SD_EESD_SD_EENS9_6detail15normal_iteratorINS9_10device_ptrIiEEEESK_iNS9_4plusIvEENS9_8equal_toIvEEiEE10hipError_tPvRmT2_T3_T4_T5_mT6_T7_P12ihipStream_tbENKUlT_T0_E_clISt17integral_constantIbLb0EES15_EEDaS10_S11_EUlS10_E_NS1_11comp_targetILNS1_3genE0ELNS1_11target_archE4294967295ELNS1_3gpuE0ELNS1_3repE0EEENS1_30default_config_static_selectorELNS0_4arch9wavefront6targetE1EEEvT1_: ; @_ZN7rocprim17ROCPRIM_400000_NS6detail17trampoline_kernelINS0_14default_configENS1_27scan_by_key_config_selectorImiEEZZNS1_16scan_by_key_implILNS1_25lookback_scan_determinismE0ELb0ES3_N6thrust23THRUST_200600_302600_NS18transform_iteratorI9row_indexNS9_17counting_iteratorImNS9_11use_defaultESD_SD_EESD_SD_EENS9_6detail15normal_iteratorINS9_10device_ptrIiEEEESK_iNS9_4plusIvEENS9_8equal_toIvEEiEE10hipError_tPvRmT2_T3_T4_T5_mT6_T7_P12ihipStream_tbENKUlT_T0_E_clISt17integral_constantIbLb0EES15_EEDaS10_S11_EUlS10_E_NS1_11comp_targetILNS1_3genE0ELNS1_11target_archE4294967295ELNS1_3gpuE0ELNS1_3repE0EEENS1_30default_config_static_selectorELNS0_4arch9wavefront6targetE1EEEvT1_
; %bb.0:
	.section	.rodata,"a",@progbits
	.p2align	6, 0x0
	.amdhsa_kernel _ZN7rocprim17ROCPRIM_400000_NS6detail17trampoline_kernelINS0_14default_configENS1_27scan_by_key_config_selectorImiEEZZNS1_16scan_by_key_implILNS1_25lookback_scan_determinismE0ELb0ES3_N6thrust23THRUST_200600_302600_NS18transform_iteratorI9row_indexNS9_17counting_iteratorImNS9_11use_defaultESD_SD_EESD_SD_EENS9_6detail15normal_iteratorINS9_10device_ptrIiEEEESK_iNS9_4plusIvEENS9_8equal_toIvEEiEE10hipError_tPvRmT2_T3_T4_T5_mT6_T7_P12ihipStream_tbENKUlT_T0_E_clISt17integral_constantIbLb0EES15_EEDaS10_S11_EUlS10_E_NS1_11comp_targetILNS1_3genE0ELNS1_11target_archE4294967295ELNS1_3gpuE0ELNS1_3repE0EEENS1_30default_config_static_selectorELNS0_4arch9wavefront6targetE1EEEvT1_
		.amdhsa_group_segment_fixed_size 0
		.amdhsa_private_segment_fixed_size 0
		.amdhsa_kernarg_size 120
		.amdhsa_user_sgpr_count 6
		.amdhsa_user_sgpr_private_segment_buffer 1
		.amdhsa_user_sgpr_dispatch_ptr 0
		.amdhsa_user_sgpr_queue_ptr 0
		.amdhsa_user_sgpr_kernarg_segment_ptr 1
		.amdhsa_user_sgpr_dispatch_id 0
		.amdhsa_user_sgpr_flat_scratch_init 0
		.amdhsa_user_sgpr_kernarg_preload_length 0
		.amdhsa_user_sgpr_kernarg_preload_offset 0
		.amdhsa_user_sgpr_private_segment_size 0
		.amdhsa_uses_dynamic_stack 0
		.amdhsa_system_sgpr_private_segment_wavefront_offset 0
		.amdhsa_system_sgpr_workgroup_id_x 1
		.amdhsa_system_sgpr_workgroup_id_y 0
		.amdhsa_system_sgpr_workgroup_id_z 0
		.amdhsa_system_sgpr_workgroup_info 0
		.amdhsa_system_vgpr_workitem_id 0
		.amdhsa_next_free_vgpr 1
		.amdhsa_next_free_sgpr 0
		.amdhsa_accum_offset 4
		.amdhsa_reserve_vcc 0
		.amdhsa_reserve_flat_scratch 0
		.amdhsa_float_round_mode_32 0
		.amdhsa_float_round_mode_16_64 0
		.amdhsa_float_denorm_mode_32 3
		.amdhsa_float_denorm_mode_16_64 3
		.amdhsa_dx10_clamp 1
		.amdhsa_ieee_mode 1
		.amdhsa_fp16_overflow 0
		.amdhsa_tg_split 0
		.amdhsa_exception_fp_ieee_invalid_op 0
		.amdhsa_exception_fp_denorm_src 0
		.amdhsa_exception_fp_ieee_div_zero 0
		.amdhsa_exception_fp_ieee_overflow 0
		.amdhsa_exception_fp_ieee_underflow 0
		.amdhsa_exception_fp_ieee_inexact 0
		.amdhsa_exception_int_div_zero 0
	.end_amdhsa_kernel
	.section	.text._ZN7rocprim17ROCPRIM_400000_NS6detail17trampoline_kernelINS0_14default_configENS1_27scan_by_key_config_selectorImiEEZZNS1_16scan_by_key_implILNS1_25lookback_scan_determinismE0ELb0ES3_N6thrust23THRUST_200600_302600_NS18transform_iteratorI9row_indexNS9_17counting_iteratorImNS9_11use_defaultESD_SD_EESD_SD_EENS9_6detail15normal_iteratorINS9_10device_ptrIiEEEESK_iNS9_4plusIvEENS9_8equal_toIvEEiEE10hipError_tPvRmT2_T3_T4_T5_mT6_T7_P12ihipStream_tbENKUlT_T0_E_clISt17integral_constantIbLb0EES15_EEDaS10_S11_EUlS10_E_NS1_11comp_targetILNS1_3genE0ELNS1_11target_archE4294967295ELNS1_3gpuE0ELNS1_3repE0EEENS1_30default_config_static_selectorELNS0_4arch9wavefront6targetE1EEEvT1_,"axG",@progbits,_ZN7rocprim17ROCPRIM_400000_NS6detail17trampoline_kernelINS0_14default_configENS1_27scan_by_key_config_selectorImiEEZZNS1_16scan_by_key_implILNS1_25lookback_scan_determinismE0ELb0ES3_N6thrust23THRUST_200600_302600_NS18transform_iteratorI9row_indexNS9_17counting_iteratorImNS9_11use_defaultESD_SD_EESD_SD_EENS9_6detail15normal_iteratorINS9_10device_ptrIiEEEESK_iNS9_4plusIvEENS9_8equal_toIvEEiEE10hipError_tPvRmT2_T3_T4_T5_mT6_T7_P12ihipStream_tbENKUlT_T0_E_clISt17integral_constantIbLb0EES15_EEDaS10_S11_EUlS10_E_NS1_11comp_targetILNS1_3genE0ELNS1_11target_archE4294967295ELNS1_3gpuE0ELNS1_3repE0EEENS1_30default_config_static_selectorELNS0_4arch9wavefront6targetE1EEEvT1_,comdat
.Lfunc_end3:
	.size	_ZN7rocprim17ROCPRIM_400000_NS6detail17trampoline_kernelINS0_14default_configENS1_27scan_by_key_config_selectorImiEEZZNS1_16scan_by_key_implILNS1_25lookback_scan_determinismE0ELb0ES3_N6thrust23THRUST_200600_302600_NS18transform_iteratorI9row_indexNS9_17counting_iteratorImNS9_11use_defaultESD_SD_EESD_SD_EENS9_6detail15normal_iteratorINS9_10device_ptrIiEEEESK_iNS9_4plusIvEENS9_8equal_toIvEEiEE10hipError_tPvRmT2_T3_T4_T5_mT6_T7_P12ihipStream_tbENKUlT_T0_E_clISt17integral_constantIbLb0EES15_EEDaS10_S11_EUlS10_E_NS1_11comp_targetILNS1_3genE0ELNS1_11target_archE4294967295ELNS1_3gpuE0ELNS1_3repE0EEENS1_30default_config_static_selectorELNS0_4arch9wavefront6targetE1EEEvT1_, .Lfunc_end3-_ZN7rocprim17ROCPRIM_400000_NS6detail17trampoline_kernelINS0_14default_configENS1_27scan_by_key_config_selectorImiEEZZNS1_16scan_by_key_implILNS1_25lookback_scan_determinismE0ELb0ES3_N6thrust23THRUST_200600_302600_NS18transform_iteratorI9row_indexNS9_17counting_iteratorImNS9_11use_defaultESD_SD_EESD_SD_EENS9_6detail15normal_iteratorINS9_10device_ptrIiEEEESK_iNS9_4plusIvEENS9_8equal_toIvEEiEE10hipError_tPvRmT2_T3_T4_T5_mT6_T7_P12ihipStream_tbENKUlT_T0_E_clISt17integral_constantIbLb0EES15_EEDaS10_S11_EUlS10_E_NS1_11comp_targetILNS1_3genE0ELNS1_11target_archE4294967295ELNS1_3gpuE0ELNS1_3repE0EEENS1_30default_config_static_selectorELNS0_4arch9wavefront6targetE1EEEvT1_
                                        ; -- End function
	.section	.AMDGPU.csdata,"",@progbits
; Kernel info:
; codeLenInByte = 0
; NumSgprs: 4
; NumVgprs: 0
; NumAgprs: 0
; TotalNumVgprs: 0
; ScratchSize: 0
; MemoryBound: 0
; FloatMode: 240
; IeeeMode: 1
; LDSByteSize: 0 bytes/workgroup (compile time only)
; SGPRBlocks: 0
; VGPRBlocks: 0
; NumSGPRsForWavesPerEU: 4
; NumVGPRsForWavesPerEU: 1
; AccumOffset: 4
; Occupancy: 8
; WaveLimiterHint : 0
; COMPUTE_PGM_RSRC2:SCRATCH_EN: 0
; COMPUTE_PGM_RSRC2:USER_SGPR: 6
; COMPUTE_PGM_RSRC2:TRAP_HANDLER: 0
; COMPUTE_PGM_RSRC2:TGID_X_EN: 1
; COMPUTE_PGM_RSRC2:TGID_Y_EN: 0
; COMPUTE_PGM_RSRC2:TGID_Z_EN: 0
; COMPUTE_PGM_RSRC2:TIDIG_COMP_CNT: 0
; COMPUTE_PGM_RSRC3_GFX90A:ACCUM_OFFSET: 0
; COMPUTE_PGM_RSRC3_GFX90A:TG_SPLIT: 0
	.section	.text._ZN7rocprim17ROCPRIM_400000_NS6detail17trampoline_kernelINS0_14default_configENS1_27scan_by_key_config_selectorImiEEZZNS1_16scan_by_key_implILNS1_25lookback_scan_determinismE0ELb0ES3_N6thrust23THRUST_200600_302600_NS18transform_iteratorI9row_indexNS9_17counting_iteratorImNS9_11use_defaultESD_SD_EESD_SD_EENS9_6detail15normal_iteratorINS9_10device_ptrIiEEEESK_iNS9_4plusIvEENS9_8equal_toIvEEiEE10hipError_tPvRmT2_T3_T4_T5_mT6_T7_P12ihipStream_tbENKUlT_T0_E_clISt17integral_constantIbLb0EES15_EEDaS10_S11_EUlS10_E_NS1_11comp_targetILNS1_3genE10ELNS1_11target_archE1201ELNS1_3gpuE5ELNS1_3repE0EEENS1_30default_config_static_selectorELNS0_4arch9wavefront6targetE1EEEvT1_,"axG",@progbits,_ZN7rocprim17ROCPRIM_400000_NS6detail17trampoline_kernelINS0_14default_configENS1_27scan_by_key_config_selectorImiEEZZNS1_16scan_by_key_implILNS1_25lookback_scan_determinismE0ELb0ES3_N6thrust23THRUST_200600_302600_NS18transform_iteratorI9row_indexNS9_17counting_iteratorImNS9_11use_defaultESD_SD_EESD_SD_EENS9_6detail15normal_iteratorINS9_10device_ptrIiEEEESK_iNS9_4plusIvEENS9_8equal_toIvEEiEE10hipError_tPvRmT2_T3_T4_T5_mT6_T7_P12ihipStream_tbENKUlT_T0_E_clISt17integral_constantIbLb0EES15_EEDaS10_S11_EUlS10_E_NS1_11comp_targetILNS1_3genE10ELNS1_11target_archE1201ELNS1_3gpuE5ELNS1_3repE0EEENS1_30default_config_static_selectorELNS0_4arch9wavefront6targetE1EEEvT1_,comdat
	.protected	_ZN7rocprim17ROCPRIM_400000_NS6detail17trampoline_kernelINS0_14default_configENS1_27scan_by_key_config_selectorImiEEZZNS1_16scan_by_key_implILNS1_25lookback_scan_determinismE0ELb0ES3_N6thrust23THRUST_200600_302600_NS18transform_iteratorI9row_indexNS9_17counting_iteratorImNS9_11use_defaultESD_SD_EESD_SD_EENS9_6detail15normal_iteratorINS9_10device_ptrIiEEEESK_iNS9_4plusIvEENS9_8equal_toIvEEiEE10hipError_tPvRmT2_T3_T4_T5_mT6_T7_P12ihipStream_tbENKUlT_T0_E_clISt17integral_constantIbLb0EES15_EEDaS10_S11_EUlS10_E_NS1_11comp_targetILNS1_3genE10ELNS1_11target_archE1201ELNS1_3gpuE5ELNS1_3repE0EEENS1_30default_config_static_selectorELNS0_4arch9wavefront6targetE1EEEvT1_ ; -- Begin function _ZN7rocprim17ROCPRIM_400000_NS6detail17trampoline_kernelINS0_14default_configENS1_27scan_by_key_config_selectorImiEEZZNS1_16scan_by_key_implILNS1_25lookback_scan_determinismE0ELb0ES3_N6thrust23THRUST_200600_302600_NS18transform_iteratorI9row_indexNS9_17counting_iteratorImNS9_11use_defaultESD_SD_EESD_SD_EENS9_6detail15normal_iteratorINS9_10device_ptrIiEEEESK_iNS9_4plusIvEENS9_8equal_toIvEEiEE10hipError_tPvRmT2_T3_T4_T5_mT6_T7_P12ihipStream_tbENKUlT_T0_E_clISt17integral_constantIbLb0EES15_EEDaS10_S11_EUlS10_E_NS1_11comp_targetILNS1_3genE10ELNS1_11target_archE1201ELNS1_3gpuE5ELNS1_3repE0EEENS1_30default_config_static_selectorELNS0_4arch9wavefront6targetE1EEEvT1_
	.globl	_ZN7rocprim17ROCPRIM_400000_NS6detail17trampoline_kernelINS0_14default_configENS1_27scan_by_key_config_selectorImiEEZZNS1_16scan_by_key_implILNS1_25lookback_scan_determinismE0ELb0ES3_N6thrust23THRUST_200600_302600_NS18transform_iteratorI9row_indexNS9_17counting_iteratorImNS9_11use_defaultESD_SD_EESD_SD_EENS9_6detail15normal_iteratorINS9_10device_ptrIiEEEESK_iNS9_4plusIvEENS9_8equal_toIvEEiEE10hipError_tPvRmT2_T3_T4_T5_mT6_T7_P12ihipStream_tbENKUlT_T0_E_clISt17integral_constantIbLb0EES15_EEDaS10_S11_EUlS10_E_NS1_11comp_targetILNS1_3genE10ELNS1_11target_archE1201ELNS1_3gpuE5ELNS1_3repE0EEENS1_30default_config_static_selectorELNS0_4arch9wavefront6targetE1EEEvT1_
	.p2align	8
	.type	_ZN7rocprim17ROCPRIM_400000_NS6detail17trampoline_kernelINS0_14default_configENS1_27scan_by_key_config_selectorImiEEZZNS1_16scan_by_key_implILNS1_25lookback_scan_determinismE0ELb0ES3_N6thrust23THRUST_200600_302600_NS18transform_iteratorI9row_indexNS9_17counting_iteratorImNS9_11use_defaultESD_SD_EESD_SD_EENS9_6detail15normal_iteratorINS9_10device_ptrIiEEEESK_iNS9_4plusIvEENS9_8equal_toIvEEiEE10hipError_tPvRmT2_T3_T4_T5_mT6_T7_P12ihipStream_tbENKUlT_T0_E_clISt17integral_constantIbLb0EES15_EEDaS10_S11_EUlS10_E_NS1_11comp_targetILNS1_3genE10ELNS1_11target_archE1201ELNS1_3gpuE5ELNS1_3repE0EEENS1_30default_config_static_selectorELNS0_4arch9wavefront6targetE1EEEvT1_,@function
_ZN7rocprim17ROCPRIM_400000_NS6detail17trampoline_kernelINS0_14default_configENS1_27scan_by_key_config_selectorImiEEZZNS1_16scan_by_key_implILNS1_25lookback_scan_determinismE0ELb0ES3_N6thrust23THRUST_200600_302600_NS18transform_iteratorI9row_indexNS9_17counting_iteratorImNS9_11use_defaultESD_SD_EESD_SD_EENS9_6detail15normal_iteratorINS9_10device_ptrIiEEEESK_iNS9_4plusIvEENS9_8equal_toIvEEiEE10hipError_tPvRmT2_T3_T4_T5_mT6_T7_P12ihipStream_tbENKUlT_T0_E_clISt17integral_constantIbLb0EES15_EEDaS10_S11_EUlS10_E_NS1_11comp_targetILNS1_3genE10ELNS1_11target_archE1201ELNS1_3gpuE5ELNS1_3repE0EEENS1_30default_config_static_selectorELNS0_4arch9wavefront6targetE1EEEvT1_: ; @_ZN7rocprim17ROCPRIM_400000_NS6detail17trampoline_kernelINS0_14default_configENS1_27scan_by_key_config_selectorImiEEZZNS1_16scan_by_key_implILNS1_25lookback_scan_determinismE0ELb0ES3_N6thrust23THRUST_200600_302600_NS18transform_iteratorI9row_indexNS9_17counting_iteratorImNS9_11use_defaultESD_SD_EESD_SD_EENS9_6detail15normal_iteratorINS9_10device_ptrIiEEEESK_iNS9_4plusIvEENS9_8equal_toIvEEiEE10hipError_tPvRmT2_T3_T4_T5_mT6_T7_P12ihipStream_tbENKUlT_T0_E_clISt17integral_constantIbLb0EES15_EEDaS10_S11_EUlS10_E_NS1_11comp_targetILNS1_3genE10ELNS1_11target_archE1201ELNS1_3gpuE5ELNS1_3repE0EEENS1_30default_config_static_selectorELNS0_4arch9wavefront6targetE1EEEvT1_
; %bb.0:
	.section	.rodata,"a",@progbits
	.p2align	6, 0x0
	.amdhsa_kernel _ZN7rocprim17ROCPRIM_400000_NS6detail17trampoline_kernelINS0_14default_configENS1_27scan_by_key_config_selectorImiEEZZNS1_16scan_by_key_implILNS1_25lookback_scan_determinismE0ELb0ES3_N6thrust23THRUST_200600_302600_NS18transform_iteratorI9row_indexNS9_17counting_iteratorImNS9_11use_defaultESD_SD_EESD_SD_EENS9_6detail15normal_iteratorINS9_10device_ptrIiEEEESK_iNS9_4plusIvEENS9_8equal_toIvEEiEE10hipError_tPvRmT2_T3_T4_T5_mT6_T7_P12ihipStream_tbENKUlT_T0_E_clISt17integral_constantIbLb0EES15_EEDaS10_S11_EUlS10_E_NS1_11comp_targetILNS1_3genE10ELNS1_11target_archE1201ELNS1_3gpuE5ELNS1_3repE0EEENS1_30default_config_static_selectorELNS0_4arch9wavefront6targetE1EEEvT1_
		.amdhsa_group_segment_fixed_size 0
		.amdhsa_private_segment_fixed_size 0
		.amdhsa_kernarg_size 120
		.amdhsa_user_sgpr_count 6
		.amdhsa_user_sgpr_private_segment_buffer 1
		.amdhsa_user_sgpr_dispatch_ptr 0
		.amdhsa_user_sgpr_queue_ptr 0
		.amdhsa_user_sgpr_kernarg_segment_ptr 1
		.amdhsa_user_sgpr_dispatch_id 0
		.amdhsa_user_sgpr_flat_scratch_init 0
		.amdhsa_user_sgpr_kernarg_preload_length 0
		.amdhsa_user_sgpr_kernarg_preload_offset 0
		.amdhsa_user_sgpr_private_segment_size 0
		.amdhsa_uses_dynamic_stack 0
		.amdhsa_system_sgpr_private_segment_wavefront_offset 0
		.amdhsa_system_sgpr_workgroup_id_x 1
		.amdhsa_system_sgpr_workgroup_id_y 0
		.amdhsa_system_sgpr_workgroup_id_z 0
		.amdhsa_system_sgpr_workgroup_info 0
		.amdhsa_system_vgpr_workitem_id 0
		.amdhsa_next_free_vgpr 1
		.amdhsa_next_free_sgpr 0
		.amdhsa_accum_offset 4
		.amdhsa_reserve_vcc 0
		.amdhsa_reserve_flat_scratch 0
		.amdhsa_float_round_mode_32 0
		.amdhsa_float_round_mode_16_64 0
		.amdhsa_float_denorm_mode_32 3
		.amdhsa_float_denorm_mode_16_64 3
		.amdhsa_dx10_clamp 1
		.amdhsa_ieee_mode 1
		.amdhsa_fp16_overflow 0
		.amdhsa_tg_split 0
		.amdhsa_exception_fp_ieee_invalid_op 0
		.amdhsa_exception_fp_denorm_src 0
		.amdhsa_exception_fp_ieee_div_zero 0
		.amdhsa_exception_fp_ieee_overflow 0
		.amdhsa_exception_fp_ieee_underflow 0
		.amdhsa_exception_fp_ieee_inexact 0
		.amdhsa_exception_int_div_zero 0
	.end_amdhsa_kernel
	.section	.text._ZN7rocprim17ROCPRIM_400000_NS6detail17trampoline_kernelINS0_14default_configENS1_27scan_by_key_config_selectorImiEEZZNS1_16scan_by_key_implILNS1_25lookback_scan_determinismE0ELb0ES3_N6thrust23THRUST_200600_302600_NS18transform_iteratorI9row_indexNS9_17counting_iteratorImNS9_11use_defaultESD_SD_EESD_SD_EENS9_6detail15normal_iteratorINS9_10device_ptrIiEEEESK_iNS9_4plusIvEENS9_8equal_toIvEEiEE10hipError_tPvRmT2_T3_T4_T5_mT6_T7_P12ihipStream_tbENKUlT_T0_E_clISt17integral_constantIbLb0EES15_EEDaS10_S11_EUlS10_E_NS1_11comp_targetILNS1_3genE10ELNS1_11target_archE1201ELNS1_3gpuE5ELNS1_3repE0EEENS1_30default_config_static_selectorELNS0_4arch9wavefront6targetE1EEEvT1_,"axG",@progbits,_ZN7rocprim17ROCPRIM_400000_NS6detail17trampoline_kernelINS0_14default_configENS1_27scan_by_key_config_selectorImiEEZZNS1_16scan_by_key_implILNS1_25lookback_scan_determinismE0ELb0ES3_N6thrust23THRUST_200600_302600_NS18transform_iteratorI9row_indexNS9_17counting_iteratorImNS9_11use_defaultESD_SD_EESD_SD_EENS9_6detail15normal_iteratorINS9_10device_ptrIiEEEESK_iNS9_4plusIvEENS9_8equal_toIvEEiEE10hipError_tPvRmT2_T3_T4_T5_mT6_T7_P12ihipStream_tbENKUlT_T0_E_clISt17integral_constantIbLb0EES15_EEDaS10_S11_EUlS10_E_NS1_11comp_targetILNS1_3genE10ELNS1_11target_archE1201ELNS1_3gpuE5ELNS1_3repE0EEENS1_30default_config_static_selectorELNS0_4arch9wavefront6targetE1EEEvT1_,comdat
.Lfunc_end4:
	.size	_ZN7rocprim17ROCPRIM_400000_NS6detail17trampoline_kernelINS0_14default_configENS1_27scan_by_key_config_selectorImiEEZZNS1_16scan_by_key_implILNS1_25lookback_scan_determinismE0ELb0ES3_N6thrust23THRUST_200600_302600_NS18transform_iteratorI9row_indexNS9_17counting_iteratorImNS9_11use_defaultESD_SD_EESD_SD_EENS9_6detail15normal_iteratorINS9_10device_ptrIiEEEESK_iNS9_4plusIvEENS9_8equal_toIvEEiEE10hipError_tPvRmT2_T3_T4_T5_mT6_T7_P12ihipStream_tbENKUlT_T0_E_clISt17integral_constantIbLb0EES15_EEDaS10_S11_EUlS10_E_NS1_11comp_targetILNS1_3genE10ELNS1_11target_archE1201ELNS1_3gpuE5ELNS1_3repE0EEENS1_30default_config_static_selectorELNS0_4arch9wavefront6targetE1EEEvT1_, .Lfunc_end4-_ZN7rocprim17ROCPRIM_400000_NS6detail17trampoline_kernelINS0_14default_configENS1_27scan_by_key_config_selectorImiEEZZNS1_16scan_by_key_implILNS1_25lookback_scan_determinismE0ELb0ES3_N6thrust23THRUST_200600_302600_NS18transform_iteratorI9row_indexNS9_17counting_iteratorImNS9_11use_defaultESD_SD_EESD_SD_EENS9_6detail15normal_iteratorINS9_10device_ptrIiEEEESK_iNS9_4plusIvEENS9_8equal_toIvEEiEE10hipError_tPvRmT2_T3_T4_T5_mT6_T7_P12ihipStream_tbENKUlT_T0_E_clISt17integral_constantIbLb0EES15_EEDaS10_S11_EUlS10_E_NS1_11comp_targetILNS1_3genE10ELNS1_11target_archE1201ELNS1_3gpuE5ELNS1_3repE0EEENS1_30default_config_static_selectorELNS0_4arch9wavefront6targetE1EEEvT1_
                                        ; -- End function
	.section	.AMDGPU.csdata,"",@progbits
; Kernel info:
; codeLenInByte = 0
; NumSgprs: 4
; NumVgprs: 0
; NumAgprs: 0
; TotalNumVgprs: 0
; ScratchSize: 0
; MemoryBound: 0
; FloatMode: 240
; IeeeMode: 1
; LDSByteSize: 0 bytes/workgroup (compile time only)
; SGPRBlocks: 0
; VGPRBlocks: 0
; NumSGPRsForWavesPerEU: 4
; NumVGPRsForWavesPerEU: 1
; AccumOffset: 4
; Occupancy: 8
; WaveLimiterHint : 0
; COMPUTE_PGM_RSRC2:SCRATCH_EN: 0
; COMPUTE_PGM_RSRC2:USER_SGPR: 6
; COMPUTE_PGM_RSRC2:TRAP_HANDLER: 0
; COMPUTE_PGM_RSRC2:TGID_X_EN: 1
; COMPUTE_PGM_RSRC2:TGID_Y_EN: 0
; COMPUTE_PGM_RSRC2:TGID_Z_EN: 0
; COMPUTE_PGM_RSRC2:TIDIG_COMP_CNT: 0
; COMPUTE_PGM_RSRC3_GFX90A:ACCUM_OFFSET: 0
; COMPUTE_PGM_RSRC3_GFX90A:TG_SPLIT: 0
	.section	.text._ZN7rocprim17ROCPRIM_400000_NS6detail17trampoline_kernelINS0_14default_configENS1_27scan_by_key_config_selectorImiEEZZNS1_16scan_by_key_implILNS1_25lookback_scan_determinismE0ELb0ES3_N6thrust23THRUST_200600_302600_NS18transform_iteratorI9row_indexNS9_17counting_iteratorImNS9_11use_defaultESD_SD_EESD_SD_EENS9_6detail15normal_iteratorINS9_10device_ptrIiEEEESK_iNS9_4plusIvEENS9_8equal_toIvEEiEE10hipError_tPvRmT2_T3_T4_T5_mT6_T7_P12ihipStream_tbENKUlT_T0_E_clISt17integral_constantIbLb0EES15_EEDaS10_S11_EUlS10_E_NS1_11comp_targetILNS1_3genE5ELNS1_11target_archE942ELNS1_3gpuE9ELNS1_3repE0EEENS1_30default_config_static_selectorELNS0_4arch9wavefront6targetE1EEEvT1_,"axG",@progbits,_ZN7rocprim17ROCPRIM_400000_NS6detail17trampoline_kernelINS0_14default_configENS1_27scan_by_key_config_selectorImiEEZZNS1_16scan_by_key_implILNS1_25lookback_scan_determinismE0ELb0ES3_N6thrust23THRUST_200600_302600_NS18transform_iteratorI9row_indexNS9_17counting_iteratorImNS9_11use_defaultESD_SD_EESD_SD_EENS9_6detail15normal_iteratorINS9_10device_ptrIiEEEESK_iNS9_4plusIvEENS9_8equal_toIvEEiEE10hipError_tPvRmT2_T3_T4_T5_mT6_T7_P12ihipStream_tbENKUlT_T0_E_clISt17integral_constantIbLb0EES15_EEDaS10_S11_EUlS10_E_NS1_11comp_targetILNS1_3genE5ELNS1_11target_archE942ELNS1_3gpuE9ELNS1_3repE0EEENS1_30default_config_static_selectorELNS0_4arch9wavefront6targetE1EEEvT1_,comdat
	.protected	_ZN7rocprim17ROCPRIM_400000_NS6detail17trampoline_kernelINS0_14default_configENS1_27scan_by_key_config_selectorImiEEZZNS1_16scan_by_key_implILNS1_25lookback_scan_determinismE0ELb0ES3_N6thrust23THRUST_200600_302600_NS18transform_iteratorI9row_indexNS9_17counting_iteratorImNS9_11use_defaultESD_SD_EESD_SD_EENS9_6detail15normal_iteratorINS9_10device_ptrIiEEEESK_iNS9_4plusIvEENS9_8equal_toIvEEiEE10hipError_tPvRmT2_T3_T4_T5_mT6_T7_P12ihipStream_tbENKUlT_T0_E_clISt17integral_constantIbLb0EES15_EEDaS10_S11_EUlS10_E_NS1_11comp_targetILNS1_3genE5ELNS1_11target_archE942ELNS1_3gpuE9ELNS1_3repE0EEENS1_30default_config_static_selectorELNS0_4arch9wavefront6targetE1EEEvT1_ ; -- Begin function _ZN7rocprim17ROCPRIM_400000_NS6detail17trampoline_kernelINS0_14default_configENS1_27scan_by_key_config_selectorImiEEZZNS1_16scan_by_key_implILNS1_25lookback_scan_determinismE0ELb0ES3_N6thrust23THRUST_200600_302600_NS18transform_iteratorI9row_indexNS9_17counting_iteratorImNS9_11use_defaultESD_SD_EESD_SD_EENS9_6detail15normal_iteratorINS9_10device_ptrIiEEEESK_iNS9_4plusIvEENS9_8equal_toIvEEiEE10hipError_tPvRmT2_T3_T4_T5_mT6_T7_P12ihipStream_tbENKUlT_T0_E_clISt17integral_constantIbLb0EES15_EEDaS10_S11_EUlS10_E_NS1_11comp_targetILNS1_3genE5ELNS1_11target_archE942ELNS1_3gpuE9ELNS1_3repE0EEENS1_30default_config_static_selectorELNS0_4arch9wavefront6targetE1EEEvT1_
	.globl	_ZN7rocprim17ROCPRIM_400000_NS6detail17trampoline_kernelINS0_14default_configENS1_27scan_by_key_config_selectorImiEEZZNS1_16scan_by_key_implILNS1_25lookback_scan_determinismE0ELb0ES3_N6thrust23THRUST_200600_302600_NS18transform_iteratorI9row_indexNS9_17counting_iteratorImNS9_11use_defaultESD_SD_EESD_SD_EENS9_6detail15normal_iteratorINS9_10device_ptrIiEEEESK_iNS9_4plusIvEENS9_8equal_toIvEEiEE10hipError_tPvRmT2_T3_T4_T5_mT6_T7_P12ihipStream_tbENKUlT_T0_E_clISt17integral_constantIbLb0EES15_EEDaS10_S11_EUlS10_E_NS1_11comp_targetILNS1_3genE5ELNS1_11target_archE942ELNS1_3gpuE9ELNS1_3repE0EEENS1_30default_config_static_selectorELNS0_4arch9wavefront6targetE1EEEvT1_
	.p2align	8
	.type	_ZN7rocprim17ROCPRIM_400000_NS6detail17trampoline_kernelINS0_14default_configENS1_27scan_by_key_config_selectorImiEEZZNS1_16scan_by_key_implILNS1_25lookback_scan_determinismE0ELb0ES3_N6thrust23THRUST_200600_302600_NS18transform_iteratorI9row_indexNS9_17counting_iteratorImNS9_11use_defaultESD_SD_EESD_SD_EENS9_6detail15normal_iteratorINS9_10device_ptrIiEEEESK_iNS9_4plusIvEENS9_8equal_toIvEEiEE10hipError_tPvRmT2_T3_T4_T5_mT6_T7_P12ihipStream_tbENKUlT_T0_E_clISt17integral_constantIbLb0EES15_EEDaS10_S11_EUlS10_E_NS1_11comp_targetILNS1_3genE5ELNS1_11target_archE942ELNS1_3gpuE9ELNS1_3repE0EEENS1_30default_config_static_selectorELNS0_4arch9wavefront6targetE1EEEvT1_,@function
_ZN7rocprim17ROCPRIM_400000_NS6detail17trampoline_kernelINS0_14default_configENS1_27scan_by_key_config_selectorImiEEZZNS1_16scan_by_key_implILNS1_25lookback_scan_determinismE0ELb0ES3_N6thrust23THRUST_200600_302600_NS18transform_iteratorI9row_indexNS9_17counting_iteratorImNS9_11use_defaultESD_SD_EESD_SD_EENS9_6detail15normal_iteratorINS9_10device_ptrIiEEEESK_iNS9_4plusIvEENS9_8equal_toIvEEiEE10hipError_tPvRmT2_T3_T4_T5_mT6_T7_P12ihipStream_tbENKUlT_T0_E_clISt17integral_constantIbLb0EES15_EEDaS10_S11_EUlS10_E_NS1_11comp_targetILNS1_3genE5ELNS1_11target_archE942ELNS1_3gpuE9ELNS1_3repE0EEENS1_30default_config_static_selectorELNS0_4arch9wavefront6targetE1EEEvT1_: ; @_ZN7rocprim17ROCPRIM_400000_NS6detail17trampoline_kernelINS0_14default_configENS1_27scan_by_key_config_selectorImiEEZZNS1_16scan_by_key_implILNS1_25lookback_scan_determinismE0ELb0ES3_N6thrust23THRUST_200600_302600_NS18transform_iteratorI9row_indexNS9_17counting_iteratorImNS9_11use_defaultESD_SD_EESD_SD_EENS9_6detail15normal_iteratorINS9_10device_ptrIiEEEESK_iNS9_4plusIvEENS9_8equal_toIvEEiEE10hipError_tPvRmT2_T3_T4_T5_mT6_T7_P12ihipStream_tbENKUlT_T0_E_clISt17integral_constantIbLb0EES15_EEDaS10_S11_EUlS10_E_NS1_11comp_targetILNS1_3genE5ELNS1_11target_archE942ELNS1_3gpuE9ELNS1_3repE0EEENS1_30default_config_static_selectorELNS0_4arch9wavefront6targetE1EEEvT1_
; %bb.0:
	.section	.rodata,"a",@progbits
	.p2align	6, 0x0
	.amdhsa_kernel _ZN7rocprim17ROCPRIM_400000_NS6detail17trampoline_kernelINS0_14default_configENS1_27scan_by_key_config_selectorImiEEZZNS1_16scan_by_key_implILNS1_25lookback_scan_determinismE0ELb0ES3_N6thrust23THRUST_200600_302600_NS18transform_iteratorI9row_indexNS9_17counting_iteratorImNS9_11use_defaultESD_SD_EESD_SD_EENS9_6detail15normal_iteratorINS9_10device_ptrIiEEEESK_iNS9_4plusIvEENS9_8equal_toIvEEiEE10hipError_tPvRmT2_T3_T4_T5_mT6_T7_P12ihipStream_tbENKUlT_T0_E_clISt17integral_constantIbLb0EES15_EEDaS10_S11_EUlS10_E_NS1_11comp_targetILNS1_3genE5ELNS1_11target_archE942ELNS1_3gpuE9ELNS1_3repE0EEENS1_30default_config_static_selectorELNS0_4arch9wavefront6targetE1EEEvT1_
		.amdhsa_group_segment_fixed_size 0
		.amdhsa_private_segment_fixed_size 0
		.amdhsa_kernarg_size 120
		.amdhsa_user_sgpr_count 6
		.amdhsa_user_sgpr_private_segment_buffer 1
		.amdhsa_user_sgpr_dispatch_ptr 0
		.amdhsa_user_sgpr_queue_ptr 0
		.amdhsa_user_sgpr_kernarg_segment_ptr 1
		.amdhsa_user_sgpr_dispatch_id 0
		.amdhsa_user_sgpr_flat_scratch_init 0
		.amdhsa_user_sgpr_kernarg_preload_length 0
		.amdhsa_user_sgpr_kernarg_preload_offset 0
		.amdhsa_user_sgpr_private_segment_size 0
		.amdhsa_uses_dynamic_stack 0
		.amdhsa_system_sgpr_private_segment_wavefront_offset 0
		.amdhsa_system_sgpr_workgroup_id_x 1
		.amdhsa_system_sgpr_workgroup_id_y 0
		.amdhsa_system_sgpr_workgroup_id_z 0
		.amdhsa_system_sgpr_workgroup_info 0
		.amdhsa_system_vgpr_workitem_id 0
		.amdhsa_next_free_vgpr 1
		.amdhsa_next_free_sgpr 0
		.amdhsa_accum_offset 4
		.amdhsa_reserve_vcc 0
		.amdhsa_reserve_flat_scratch 0
		.amdhsa_float_round_mode_32 0
		.amdhsa_float_round_mode_16_64 0
		.amdhsa_float_denorm_mode_32 3
		.amdhsa_float_denorm_mode_16_64 3
		.amdhsa_dx10_clamp 1
		.amdhsa_ieee_mode 1
		.amdhsa_fp16_overflow 0
		.amdhsa_tg_split 0
		.amdhsa_exception_fp_ieee_invalid_op 0
		.amdhsa_exception_fp_denorm_src 0
		.amdhsa_exception_fp_ieee_div_zero 0
		.amdhsa_exception_fp_ieee_overflow 0
		.amdhsa_exception_fp_ieee_underflow 0
		.amdhsa_exception_fp_ieee_inexact 0
		.amdhsa_exception_int_div_zero 0
	.end_amdhsa_kernel
	.section	.text._ZN7rocprim17ROCPRIM_400000_NS6detail17trampoline_kernelINS0_14default_configENS1_27scan_by_key_config_selectorImiEEZZNS1_16scan_by_key_implILNS1_25lookback_scan_determinismE0ELb0ES3_N6thrust23THRUST_200600_302600_NS18transform_iteratorI9row_indexNS9_17counting_iteratorImNS9_11use_defaultESD_SD_EESD_SD_EENS9_6detail15normal_iteratorINS9_10device_ptrIiEEEESK_iNS9_4plusIvEENS9_8equal_toIvEEiEE10hipError_tPvRmT2_T3_T4_T5_mT6_T7_P12ihipStream_tbENKUlT_T0_E_clISt17integral_constantIbLb0EES15_EEDaS10_S11_EUlS10_E_NS1_11comp_targetILNS1_3genE5ELNS1_11target_archE942ELNS1_3gpuE9ELNS1_3repE0EEENS1_30default_config_static_selectorELNS0_4arch9wavefront6targetE1EEEvT1_,"axG",@progbits,_ZN7rocprim17ROCPRIM_400000_NS6detail17trampoline_kernelINS0_14default_configENS1_27scan_by_key_config_selectorImiEEZZNS1_16scan_by_key_implILNS1_25lookback_scan_determinismE0ELb0ES3_N6thrust23THRUST_200600_302600_NS18transform_iteratorI9row_indexNS9_17counting_iteratorImNS9_11use_defaultESD_SD_EESD_SD_EENS9_6detail15normal_iteratorINS9_10device_ptrIiEEEESK_iNS9_4plusIvEENS9_8equal_toIvEEiEE10hipError_tPvRmT2_T3_T4_T5_mT6_T7_P12ihipStream_tbENKUlT_T0_E_clISt17integral_constantIbLb0EES15_EEDaS10_S11_EUlS10_E_NS1_11comp_targetILNS1_3genE5ELNS1_11target_archE942ELNS1_3gpuE9ELNS1_3repE0EEENS1_30default_config_static_selectorELNS0_4arch9wavefront6targetE1EEEvT1_,comdat
.Lfunc_end5:
	.size	_ZN7rocprim17ROCPRIM_400000_NS6detail17trampoline_kernelINS0_14default_configENS1_27scan_by_key_config_selectorImiEEZZNS1_16scan_by_key_implILNS1_25lookback_scan_determinismE0ELb0ES3_N6thrust23THRUST_200600_302600_NS18transform_iteratorI9row_indexNS9_17counting_iteratorImNS9_11use_defaultESD_SD_EESD_SD_EENS9_6detail15normal_iteratorINS9_10device_ptrIiEEEESK_iNS9_4plusIvEENS9_8equal_toIvEEiEE10hipError_tPvRmT2_T3_T4_T5_mT6_T7_P12ihipStream_tbENKUlT_T0_E_clISt17integral_constantIbLb0EES15_EEDaS10_S11_EUlS10_E_NS1_11comp_targetILNS1_3genE5ELNS1_11target_archE942ELNS1_3gpuE9ELNS1_3repE0EEENS1_30default_config_static_selectorELNS0_4arch9wavefront6targetE1EEEvT1_, .Lfunc_end5-_ZN7rocprim17ROCPRIM_400000_NS6detail17trampoline_kernelINS0_14default_configENS1_27scan_by_key_config_selectorImiEEZZNS1_16scan_by_key_implILNS1_25lookback_scan_determinismE0ELb0ES3_N6thrust23THRUST_200600_302600_NS18transform_iteratorI9row_indexNS9_17counting_iteratorImNS9_11use_defaultESD_SD_EESD_SD_EENS9_6detail15normal_iteratorINS9_10device_ptrIiEEEESK_iNS9_4plusIvEENS9_8equal_toIvEEiEE10hipError_tPvRmT2_T3_T4_T5_mT6_T7_P12ihipStream_tbENKUlT_T0_E_clISt17integral_constantIbLb0EES15_EEDaS10_S11_EUlS10_E_NS1_11comp_targetILNS1_3genE5ELNS1_11target_archE942ELNS1_3gpuE9ELNS1_3repE0EEENS1_30default_config_static_selectorELNS0_4arch9wavefront6targetE1EEEvT1_
                                        ; -- End function
	.section	.AMDGPU.csdata,"",@progbits
; Kernel info:
; codeLenInByte = 0
; NumSgprs: 4
; NumVgprs: 0
; NumAgprs: 0
; TotalNumVgprs: 0
; ScratchSize: 0
; MemoryBound: 0
; FloatMode: 240
; IeeeMode: 1
; LDSByteSize: 0 bytes/workgroup (compile time only)
; SGPRBlocks: 0
; VGPRBlocks: 0
; NumSGPRsForWavesPerEU: 4
; NumVGPRsForWavesPerEU: 1
; AccumOffset: 4
; Occupancy: 8
; WaveLimiterHint : 0
; COMPUTE_PGM_RSRC2:SCRATCH_EN: 0
; COMPUTE_PGM_RSRC2:USER_SGPR: 6
; COMPUTE_PGM_RSRC2:TRAP_HANDLER: 0
; COMPUTE_PGM_RSRC2:TGID_X_EN: 1
; COMPUTE_PGM_RSRC2:TGID_Y_EN: 0
; COMPUTE_PGM_RSRC2:TGID_Z_EN: 0
; COMPUTE_PGM_RSRC2:TIDIG_COMP_CNT: 0
; COMPUTE_PGM_RSRC3_GFX90A:ACCUM_OFFSET: 0
; COMPUTE_PGM_RSRC3_GFX90A:TG_SPLIT: 0
	.section	.text._ZN7rocprim17ROCPRIM_400000_NS6detail17trampoline_kernelINS0_14default_configENS1_27scan_by_key_config_selectorImiEEZZNS1_16scan_by_key_implILNS1_25lookback_scan_determinismE0ELb0ES3_N6thrust23THRUST_200600_302600_NS18transform_iteratorI9row_indexNS9_17counting_iteratorImNS9_11use_defaultESD_SD_EESD_SD_EENS9_6detail15normal_iteratorINS9_10device_ptrIiEEEESK_iNS9_4plusIvEENS9_8equal_toIvEEiEE10hipError_tPvRmT2_T3_T4_T5_mT6_T7_P12ihipStream_tbENKUlT_T0_E_clISt17integral_constantIbLb0EES15_EEDaS10_S11_EUlS10_E_NS1_11comp_targetILNS1_3genE4ELNS1_11target_archE910ELNS1_3gpuE8ELNS1_3repE0EEENS1_30default_config_static_selectorELNS0_4arch9wavefront6targetE1EEEvT1_,"axG",@progbits,_ZN7rocprim17ROCPRIM_400000_NS6detail17trampoline_kernelINS0_14default_configENS1_27scan_by_key_config_selectorImiEEZZNS1_16scan_by_key_implILNS1_25lookback_scan_determinismE0ELb0ES3_N6thrust23THRUST_200600_302600_NS18transform_iteratorI9row_indexNS9_17counting_iteratorImNS9_11use_defaultESD_SD_EESD_SD_EENS9_6detail15normal_iteratorINS9_10device_ptrIiEEEESK_iNS9_4plusIvEENS9_8equal_toIvEEiEE10hipError_tPvRmT2_T3_T4_T5_mT6_T7_P12ihipStream_tbENKUlT_T0_E_clISt17integral_constantIbLb0EES15_EEDaS10_S11_EUlS10_E_NS1_11comp_targetILNS1_3genE4ELNS1_11target_archE910ELNS1_3gpuE8ELNS1_3repE0EEENS1_30default_config_static_selectorELNS0_4arch9wavefront6targetE1EEEvT1_,comdat
	.protected	_ZN7rocprim17ROCPRIM_400000_NS6detail17trampoline_kernelINS0_14default_configENS1_27scan_by_key_config_selectorImiEEZZNS1_16scan_by_key_implILNS1_25lookback_scan_determinismE0ELb0ES3_N6thrust23THRUST_200600_302600_NS18transform_iteratorI9row_indexNS9_17counting_iteratorImNS9_11use_defaultESD_SD_EESD_SD_EENS9_6detail15normal_iteratorINS9_10device_ptrIiEEEESK_iNS9_4plusIvEENS9_8equal_toIvEEiEE10hipError_tPvRmT2_T3_T4_T5_mT6_T7_P12ihipStream_tbENKUlT_T0_E_clISt17integral_constantIbLb0EES15_EEDaS10_S11_EUlS10_E_NS1_11comp_targetILNS1_3genE4ELNS1_11target_archE910ELNS1_3gpuE8ELNS1_3repE0EEENS1_30default_config_static_selectorELNS0_4arch9wavefront6targetE1EEEvT1_ ; -- Begin function _ZN7rocprim17ROCPRIM_400000_NS6detail17trampoline_kernelINS0_14default_configENS1_27scan_by_key_config_selectorImiEEZZNS1_16scan_by_key_implILNS1_25lookback_scan_determinismE0ELb0ES3_N6thrust23THRUST_200600_302600_NS18transform_iteratorI9row_indexNS9_17counting_iteratorImNS9_11use_defaultESD_SD_EESD_SD_EENS9_6detail15normal_iteratorINS9_10device_ptrIiEEEESK_iNS9_4plusIvEENS9_8equal_toIvEEiEE10hipError_tPvRmT2_T3_T4_T5_mT6_T7_P12ihipStream_tbENKUlT_T0_E_clISt17integral_constantIbLb0EES15_EEDaS10_S11_EUlS10_E_NS1_11comp_targetILNS1_3genE4ELNS1_11target_archE910ELNS1_3gpuE8ELNS1_3repE0EEENS1_30default_config_static_selectorELNS0_4arch9wavefront6targetE1EEEvT1_
	.globl	_ZN7rocprim17ROCPRIM_400000_NS6detail17trampoline_kernelINS0_14default_configENS1_27scan_by_key_config_selectorImiEEZZNS1_16scan_by_key_implILNS1_25lookback_scan_determinismE0ELb0ES3_N6thrust23THRUST_200600_302600_NS18transform_iteratorI9row_indexNS9_17counting_iteratorImNS9_11use_defaultESD_SD_EESD_SD_EENS9_6detail15normal_iteratorINS9_10device_ptrIiEEEESK_iNS9_4plusIvEENS9_8equal_toIvEEiEE10hipError_tPvRmT2_T3_T4_T5_mT6_T7_P12ihipStream_tbENKUlT_T0_E_clISt17integral_constantIbLb0EES15_EEDaS10_S11_EUlS10_E_NS1_11comp_targetILNS1_3genE4ELNS1_11target_archE910ELNS1_3gpuE8ELNS1_3repE0EEENS1_30default_config_static_selectorELNS0_4arch9wavefront6targetE1EEEvT1_
	.p2align	8
	.type	_ZN7rocprim17ROCPRIM_400000_NS6detail17trampoline_kernelINS0_14default_configENS1_27scan_by_key_config_selectorImiEEZZNS1_16scan_by_key_implILNS1_25lookback_scan_determinismE0ELb0ES3_N6thrust23THRUST_200600_302600_NS18transform_iteratorI9row_indexNS9_17counting_iteratorImNS9_11use_defaultESD_SD_EESD_SD_EENS9_6detail15normal_iteratorINS9_10device_ptrIiEEEESK_iNS9_4plusIvEENS9_8equal_toIvEEiEE10hipError_tPvRmT2_T3_T4_T5_mT6_T7_P12ihipStream_tbENKUlT_T0_E_clISt17integral_constantIbLb0EES15_EEDaS10_S11_EUlS10_E_NS1_11comp_targetILNS1_3genE4ELNS1_11target_archE910ELNS1_3gpuE8ELNS1_3repE0EEENS1_30default_config_static_selectorELNS0_4arch9wavefront6targetE1EEEvT1_,@function
_ZN7rocprim17ROCPRIM_400000_NS6detail17trampoline_kernelINS0_14default_configENS1_27scan_by_key_config_selectorImiEEZZNS1_16scan_by_key_implILNS1_25lookback_scan_determinismE0ELb0ES3_N6thrust23THRUST_200600_302600_NS18transform_iteratorI9row_indexNS9_17counting_iteratorImNS9_11use_defaultESD_SD_EESD_SD_EENS9_6detail15normal_iteratorINS9_10device_ptrIiEEEESK_iNS9_4plusIvEENS9_8equal_toIvEEiEE10hipError_tPvRmT2_T3_T4_T5_mT6_T7_P12ihipStream_tbENKUlT_T0_E_clISt17integral_constantIbLb0EES15_EEDaS10_S11_EUlS10_E_NS1_11comp_targetILNS1_3genE4ELNS1_11target_archE910ELNS1_3gpuE8ELNS1_3repE0EEENS1_30default_config_static_selectorELNS0_4arch9wavefront6targetE1EEEvT1_: ; @_ZN7rocprim17ROCPRIM_400000_NS6detail17trampoline_kernelINS0_14default_configENS1_27scan_by_key_config_selectorImiEEZZNS1_16scan_by_key_implILNS1_25lookback_scan_determinismE0ELb0ES3_N6thrust23THRUST_200600_302600_NS18transform_iteratorI9row_indexNS9_17counting_iteratorImNS9_11use_defaultESD_SD_EESD_SD_EENS9_6detail15normal_iteratorINS9_10device_ptrIiEEEESK_iNS9_4plusIvEENS9_8equal_toIvEEiEE10hipError_tPvRmT2_T3_T4_T5_mT6_T7_P12ihipStream_tbENKUlT_T0_E_clISt17integral_constantIbLb0EES15_EEDaS10_S11_EUlS10_E_NS1_11comp_targetILNS1_3genE4ELNS1_11target_archE910ELNS1_3gpuE8ELNS1_3repE0EEENS1_30default_config_static_selectorELNS0_4arch9wavefront6targetE1EEEvT1_
; %bb.0:
	s_load_dwordx8 s[44:51], s[4:5], 0x0
	s_load_dwordx4 s[52:55], s[4:5], 0x30
	s_load_dwordx2 s[58:59], s[4:5], 0x40
	s_load_dword s0, s[4:5], 0x48
	s_load_dwordx8 s[36:43], s[4:5], 0x50
	s_waitcnt lgkmcnt(0)
	s_lshl_b64 s[56:57], s[48:49], 2
	s_add_u32 s3, s50, s56
	s_addc_u32 s8, s51, s57
	s_mul_i32 s1, s59, s0
	s_mul_hi_u32 s2, s58, s0
	s_add_i32 s9, s2, s1
	s_mul_i32 s10, s58, s0
	s_cmp_lg_u64 s[40:41], 0
	s_mul_i32 s0, s6, 0xe00
	s_cselect_b64 s[50:51], -1, 0
	s_add_u32 s7, s44, s0
	s_mov_b32 s2, 0
	s_addc_u32 s11, s45, 0
	s_mov_b32 s1, s2
	s_add_u32 s44, s7, s48
	s_addc_u32 s45, s11, s49
	s_lshl_b64 s[40:41], s[0:1], 2
	s_add_u32 s7, s3, s40
	s_addc_u32 s55, s8, s41
	s_add_u32 s48, s10, s6
	s_addc_u32 s49, s9, 0
	s_add_u32 s8, s36, -1
	s_addc_u32 s9, s37, -1
	v_pk_mov_b32 v[2:3], s[8:9], s[8:9] op_sel:[0,1]
	v_cmp_ge_u64_e64 s[0:1], s[48:49], v[2:3]
	s_mov_b64 s[20:21], 0
	s_mov_b64 s[16:17], -1
	s_and_b64 vcc, exec, s[0:1]
	s_mul_i32 s33, s8, 0xfffff200
	s_barrier
	s_cbranch_vccz .LBB6_91
; %bb.1:
	s_or_b64 s[8:9], s[44:45], s[46:47]
	s_mov_b32 s3, s9
	s_cmp_lg_u64 s[2:3], 0
	s_cbranch_scc0 .LBB6_92
; %bb.2:
	v_cvt_f32_u32_e32 v1, s46
	v_cvt_f32_u32_e32 v2, s47
	s_sub_u32 s2, 0, s46
	s_subb_u32 s3, 0, s47
	v_madmk_f32 v1, v2, 0x4f800000, v1
	v_rcp_f32_e32 v1, v1
	v_mul_f32_e32 v1, 0x5f7ffffc, v1
	v_mul_f32_e32 v2, 0x2f800000, v1
	v_trunc_f32_e32 v2, v2
	v_madmk_f32 v1, v2, 0xcf800000, v1
	v_cvt_u32_f32_e32 v2, v2
	v_cvt_u32_f32_e32 v1, v1
	v_readfirstlane_b32 s10, v2
	v_readfirstlane_b32 s11, v1
	s_mul_i32 s12, s2, s10
	s_mul_hi_u32 s14, s2, s11
	s_mul_i32 s13, s3, s11
	s_add_i32 s12, s14, s12
	s_add_i32 s12, s12, s13
	s_mul_i32 s15, s2, s11
	s_mul_hi_u32 s13, s11, s12
	s_mul_i32 s14, s11, s12
	s_mul_hi_u32 s11, s11, s15
	s_add_u32 s11, s11, s14
	s_addc_u32 s13, 0, s13
	s_mul_hi_u32 s16, s10, s15
	s_mul_i32 s15, s10, s15
	s_add_u32 s11, s11, s15
	s_mul_hi_u32 s14, s10, s12
	s_addc_u32 s11, s13, s16
	s_addc_u32 s13, s14, 0
	s_mul_i32 s12, s10, s12
	s_add_u32 s11, s11, s12
	s_addc_u32 s12, 0, s13
	v_add_co_u32_e32 v1, vcc, s11, v1
	s_cmp_lg_u64 vcc, 0
	s_addc_u32 s10, s10, s12
	v_readfirstlane_b32 s12, v1
	s_mul_i32 s11, s2, s10
	s_mul_hi_u32 s13, s2, s12
	s_add_i32 s11, s13, s11
	s_mul_i32 s3, s3, s12
	s_add_i32 s11, s11, s3
	s_mul_i32 s2, s2, s12
	s_mul_hi_u32 s13, s10, s2
	s_mul_i32 s14, s10, s2
	s_mul_i32 s16, s12, s11
	s_mul_hi_u32 s2, s12, s2
	s_mul_hi_u32 s15, s12, s11
	s_add_u32 s2, s2, s16
	s_addc_u32 s12, 0, s15
	s_add_u32 s2, s2, s14
	s_mul_hi_u32 s3, s10, s11
	s_addc_u32 s2, s12, s13
	s_addc_u32 s3, s3, 0
	s_mul_i32 s11, s10, s11
	s_add_u32 s2, s2, s11
	s_addc_u32 s3, 0, s3
	v_add_co_u32_e32 v1, vcc, s2, v1
	s_cmp_lg_u64 vcc, 0
	s_addc_u32 s2, s10, s3
	v_readfirstlane_b32 s11, v1
	s_mul_i32 s10, s44, s2
	s_mul_hi_u32 s12, s44, s11
	s_mul_hi_u32 s3, s44, s2
	s_add_u32 s10, s12, s10
	s_addc_u32 s3, 0, s3
	s_mul_hi_u32 s13, s45, s11
	s_mul_i32 s11, s45, s11
	s_add_u32 s10, s10, s11
	s_mul_hi_u32 s12, s45, s2
	s_addc_u32 s3, s3, s13
	s_addc_u32 s10, s12, 0
	s_mul_i32 s2, s45, s2
	s_add_u32 s11, s3, s2
	s_addc_u32 s10, 0, s10
	s_mul_i32 s2, s46, s10
	s_mul_hi_u32 s3, s46, s11
	s_add_i32 s2, s3, s2
	s_mul_i32 s3, s47, s11
	s_add_i32 s12, s2, s3
	s_mul_i32 s3, s46, s11
	v_mov_b32_e32 v1, s3
	s_sub_i32 s2, s45, s12
	v_sub_co_u32_e32 v1, vcc, s44, v1
	s_cmp_lg_u64 vcc, 0
	s_subb_u32 s13, s2, s47
	v_subrev_co_u32_e64 v2, s[2:3], s46, v1
	s_cmp_lg_u64 s[2:3], 0
	s_subb_u32 s13, s13, 0
	s_cmp_ge_u32 s13, s47
	s_cselect_b32 s14, -1, 0
	v_cmp_le_u32_e64 s[2:3], s46, v2
	s_cmp_eq_u32 s13, s47
	v_cndmask_b32_e64 v2, 0, -1, s[2:3]
	v_mov_b32_e32 v3, s14
	s_cselect_b64 s[2:3], -1, 0
	v_cndmask_b32_e64 v2, v3, v2, s[2:3]
	s_add_u32 s2, s11, 1
	s_addc_u32 s13, s10, 0
	s_add_u32 s3, s11, 2
	s_addc_u32 s14, s10, 0
	v_mov_b32_e32 v3, s2
	v_mov_b32_e32 v4, s3
	v_cmp_ne_u32_e64 s[2:3], 0, v2
	v_cndmask_b32_e64 v2, v3, v4, s[2:3]
	v_mov_b32_e32 v3, s13
	v_mov_b32_e32 v4, s14
	s_cmp_lg_u64 vcc, 0
	v_cndmask_b32_e64 v3, v3, v4, s[2:3]
	s_subb_u32 s2, s45, s12
	s_cmp_ge_u32 s2, s47
	s_cselect_b32 s3, -1, 0
	v_cmp_le_u32_e32 vcc, s46, v1
	s_cmp_eq_u32 s2, s47
	v_cndmask_b32_e64 v1, 0, -1, vcc
	v_mov_b32_e32 v4, s3
	s_cselect_b64 vcc, -1, 0
	v_cndmask_b32_e32 v1, v4, v1, vcc
	v_mov_b32_e32 v4, s10
	v_cmp_ne_u32_e32 vcc, 0, v1
	v_mov_b32_e32 v1, s11
	v_cndmask_b32_e32 v55, v4, v3, vcc
	v_cndmask_b32_e32 v54, v1, v2, vcc
	s_cbranch_execnz .LBB6_4
.LBB6_3:
	v_cvt_f32_u32_e32 v1, s46
	s_sub_i32 s2, 0, s46
	s_mov_b32 s3, 0
	v_rcp_iflag_f32_e32 v1, v1
	v_mul_f32_e32 v1, 0x4f7ffffe, v1
	v_cvt_u32_f32_e32 v1, v1
	v_readfirstlane_b32 s8, v1
	s_mul_i32 s2, s2, s8
	s_mul_hi_u32 s2, s8, s2
	s_add_i32 s8, s8, s2
	s_mul_hi_u32 s2, s44, s8
	s_mul_i32 s9, s2, s46
	s_sub_i32 s9, s44, s9
	s_add_i32 s8, s2, 1
	s_sub_i32 s10, s9, s46
	s_cmp_ge_u32 s9, s46
	s_cselect_b32 s2, s8, s2
	s_cselect_b32 s9, s10, s9
	s_add_i32 s8, s2, 1
	s_cmp_ge_u32 s9, s46
	s_cselect_b32 s2, s8, s2
	v_pk_mov_b32 v[54:55], s[2:3], s[2:3] op_sel:[0,1]
.LBB6_4:
	s_add_i32 s64, s33, s54
	v_cmp_gt_u32_e64 s[2:3], s64, v0
	v_pk_mov_b32 v[2:3], v[54:55], v[54:55] op_sel:[0,1]
	s_and_saveexec_b64 s[10:11], s[2:3]
	s_cbranch_execz .LBB6_10
; %bb.5:
	v_mov_b32_e32 v3, s45
	v_add_co_u32_e32 v1, vcc, s44, v0
	v_addc_co_u32_e32 v4, vcc, 0, v3, vcc
	v_mov_b32_e32 v2, 0
	v_or_b32_e32 v3, s47, v4
	v_cmp_ne_u64_e32 vcc, 0, v[2:3]
                                        ; implicit-def: $vgpr2_vgpr3
	s_and_saveexec_b64 s[8:9], vcc
	s_xor_b64 s[12:13], exec, s[8:9]
	s_cbranch_execz .LBB6_7
; %bb.6:
	v_cvt_f32_u32_e32 v2, s46
	v_cvt_f32_u32_e32 v3, s47
	s_sub_u32 s8, 0, s46
	s_subb_u32 s9, 0, s47
	v_madmk_f32 v2, v3, 0x4f800000, v2
	v_rcp_f32_e32 v2, v2
	v_mul_f32_e32 v2, 0x5f7ffffc, v2
	v_mul_f32_e32 v3, 0x2f800000, v2
	v_trunc_f32_e32 v3, v3
	v_madmk_f32 v2, v3, 0xcf800000, v2
	v_cvt_u32_f32_e32 v3, v3
	v_cvt_u32_f32_e32 v2, v2
	v_mul_lo_u32 v5, s8, v3
	v_mul_hi_u32 v7, s8, v2
	v_mul_lo_u32 v6, s9, v2
	v_add_u32_e32 v5, v7, v5
	v_mul_lo_u32 v8, s8, v2
	v_add_u32_e32 v5, v5, v6
	v_mul_hi_u32 v7, v2, v8
	v_mul_lo_u32 v9, v2, v5
	v_mul_hi_u32 v6, v2, v5
	v_add_co_u32_e32 v7, vcc, v7, v9
	v_addc_co_u32_e32 v6, vcc, 0, v6, vcc
	v_mul_hi_u32 v10, v3, v8
	v_mul_lo_u32 v8, v3, v8
	v_add_co_u32_e32 v7, vcc, v7, v8
	v_mul_hi_u32 v9, v3, v5
	v_addc_co_u32_e32 v6, vcc, v6, v10, vcc
	v_addc_co_u32_e32 v7, vcc, 0, v9, vcc
	v_mul_lo_u32 v5, v3, v5
	v_add_co_u32_e32 v5, vcc, v6, v5
	v_addc_co_u32_e32 v6, vcc, 0, v7, vcc
	v_add_co_u32_e32 v2, vcc, v2, v5
	v_addc_co_u32_e32 v3, vcc, v3, v6, vcc
	v_mul_lo_u32 v5, s8, v3
	v_mul_hi_u32 v6, s8, v2
	v_add_u32_e32 v5, v6, v5
	v_mul_lo_u32 v6, s9, v2
	v_add_u32_e32 v5, v5, v6
	v_mul_lo_u32 v7, s8, v2
	v_mul_hi_u32 v8, v3, v7
	v_mul_lo_u32 v9, v3, v7
	v_mul_lo_u32 v11, v2, v5
	v_mul_hi_u32 v7, v2, v7
	v_mul_hi_u32 v10, v2, v5
	v_add_co_u32_e32 v7, vcc, v7, v11
	v_addc_co_u32_e32 v10, vcc, 0, v10, vcc
	v_add_co_u32_e32 v7, vcc, v7, v9
	v_mul_hi_u32 v6, v3, v5
	v_addc_co_u32_e32 v7, vcc, v10, v8, vcc
	v_addc_co_u32_e32 v6, vcc, 0, v6, vcc
	v_mul_lo_u32 v5, v3, v5
	v_add_co_u32_e32 v5, vcc, v7, v5
	v_addc_co_u32_e32 v6, vcc, 0, v6, vcc
	v_add_co_u32_e32 v5, vcc, v2, v5
	v_addc_co_u32_e32 v6, vcc, v3, v6, vcc
	v_mad_u64_u32 v[2:3], s[8:9], v1, v6, 0
	v_mul_hi_u32 v7, v1, v5
	v_add_co_u32_e32 v8, vcc, v7, v2
	v_addc_co_u32_e32 v9, vcc, 0, v3, vcc
	v_mad_u64_u32 v[2:3], s[8:9], v4, v6, 0
	v_mad_u64_u32 v[6:7], s[8:9], v4, v5, 0
	v_add_co_u32_e32 v5, vcc, v8, v6
	v_addc_co_u32_e32 v5, vcc, v9, v7, vcc
	v_addc_co_u32_e32 v3, vcc, 0, v3, vcc
	v_add_co_u32_e32 v5, vcc, v5, v2
	v_addc_co_u32_e32 v6, vcc, 0, v3, vcc
	v_mul_lo_u32 v7, s47, v5
	v_mul_lo_u32 v8, s46, v6
	v_mad_u64_u32 v[2:3], s[8:9], s46, v5, 0
	v_add3_u32 v3, v3, v8, v7
	v_sub_u32_e32 v7, v4, v3
	v_mov_b32_e32 v8, s47
	v_sub_co_u32_e32 v1, vcc, v1, v2
	v_subb_co_u32_e64 v2, s[8:9], v7, v8, vcc
	v_subrev_co_u32_e64 v7, s[8:9], s46, v1
	v_subbrev_co_u32_e64 v2, s[8:9], 0, v2, s[8:9]
	v_cmp_le_u32_e64 s[8:9], s47, v2
	v_cndmask_b32_e64 v8, 0, -1, s[8:9]
	v_cmp_le_u32_e64 s[8:9], s46, v7
	v_cndmask_b32_e64 v7, 0, -1, s[8:9]
	v_cmp_eq_u32_e64 s[8:9], s47, v2
	v_cndmask_b32_e64 v2, v8, v7, s[8:9]
	v_add_co_u32_e64 v7, s[8:9], 2, v5
	v_subb_co_u32_e32 v3, vcc, v4, v3, vcc
	v_addc_co_u32_e64 v8, s[8:9], 0, v6, s[8:9]
	v_cmp_le_u32_e32 vcc, s47, v3
	v_add_co_u32_e64 v9, s[8:9], 1, v5
	v_cndmask_b32_e64 v4, 0, -1, vcc
	v_cmp_le_u32_e32 vcc, s46, v1
	v_addc_co_u32_e64 v10, s[8:9], 0, v6, s[8:9]
	v_cndmask_b32_e64 v1, 0, -1, vcc
	v_cmp_eq_u32_e32 vcc, s47, v3
	v_cmp_ne_u32_e64 s[8:9], 0, v2
	v_cndmask_b32_e32 v1, v4, v1, vcc
	v_cndmask_b32_e64 v2, v10, v8, s[8:9]
	v_cmp_ne_u32_e32 vcc, 0, v1
	v_cndmask_b32_e64 v1, v9, v7, s[8:9]
	v_cndmask_b32_e32 v3, v6, v2, vcc
	v_cndmask_b32_e32 v2, v5, v1, vcc
                                        ; implicit-def: $vgpr1
.LBB6_7:
	s_andn2_saveexec_b64 s[8:9], s[12:13]
	s_cbranch_execz .LBB6_9
; %bb.8:
	v_cvt_f32_u32_e32 v2, s46
	s_sub_i32 s12, 0, s46
	v_rcp_iflag_f32_e32 v2, v2
	v_mul_f32_e32 v2, 0x4f7ffffe, v2
	v_cvt_u32_f32_e32 v2, v2
	v_mul_lo_u32 v3, s12, v2
	v_mul_hi_u32 v3, v2, v3
	v_add_u32_e32 v2, v2, v3
	v_mul_hi_u32 v2, v1, v2
	v_mul_lo_u32 v3, v2, s46
	v_sub_u32_e32 v1, v1, v3
	v_add_u32_e32 v4, 1, v2
	v_subrev_u32_e32 v3, s46, v1
	v_cmp_le_u32_e32 vcc, s46, v1
	v_cndmask_b32_e32 v1, v1, v3, vcc
	v_cndmask_b32_e32 v2, v2, v4, vcc
	v_add_u32_e32 v3, 1, v2
	v_cmp_le_u32_e32 vcc, s46, v1
	v_cndmask_b32_e32 v2, v2, v3, vcc
	v_mov_b32_e32 v3, 0
.LBB6_9:
	s_or_b64 exec, exec, s[8:9]
.LBB6_10:
	s_or_b64 exec, exec, s[10:11]
	v_or_b32_e32 v1, 0x100, v0
	v_cmp_gt_u32_e64 s[34:35], s64, v1
	v_pk_mov_b32 v[4:5], v[54:55], v[54:55] op_sel:[0,1]
	s_and_saveexec_b64 s[10:11], s[34:35]
	s_cbranch_execz .LBB6_16
; %bb.11:
	v_mov_b32_e32 v5, s45
	v_add_co_u32_e32 v1, vcc, s44, v1
	v_addc_co_u32_e32 v6, vcc, 0, v5, vcc
	v_mov_b32_e32 v4, 0
	v_or_b32_e32 v5, s47, v6
	v_cmp_ne_u64_e32 vcc, 0, v[4:5]
                                        ; implicit-def: $vgpr4_vgpr5
	s_and_saveexec_b64 s[8:9], vcc
	s_xor_b64 s[12:13], exec, s[8:9]
	s_cbranch_execz .LBB6_13
; %bb.12:
	v_cvt_f32_u32_e32 v4, s46
	v_cvt_f32_u32_e32 v5, s47
	s_sub_u32 s8, 0, s46
	s_subb_u32 s9, 0, s47
	v_madmk_f32 v4, v5, 0x4f800000, v4
	v_rcp_f32_e32 v4, v4
	v_mul_f32_e32 v4, 0x5f7ffffc, v4
	v_mul_f32_e32 v5, 0x2f800000, v4
	v_trunc_f32_e32 v5, v5
	v_madmk_f32 v4, v5, 0xcf800000, v4
	v_cvt_u32_f32_e32 v5, v5
	v_cvt_u32_f32_e32 v4, v4
	v_mul_lo_u32 v7, s8, v5
	v_mul_hi_u32 v9, s8, v4
	v_mul_lo_u32 v8, s9, v4
	v_add_u32_e32 v7, v9, v7
	v_mul_lo_u32 v10, s8, v4
	v_add_u32_e32 v7, v7, v8
	v_mul_hi_u32 v9, v4, v10
	v_mul_lo_u32 v11, v4, v7
	v_mul_hi_u32 v8, v4, v7
	v_add_co_u32_e32 v9, vcc, v9, v11
	v_addc_co_u32_e32 v8, vcc, 0, v8, vcc
	v_mul_hi_u32 v12, v5, v10
	v_mul_lo_u32 v10, v5, v10
	v_add_co_u32_e32 v9, vcc, v9, v10
	v_mul_hi_u32 v11, v5, v7
	v_addc_co_u32_e32 v8, vcc, v8, v12, vcc
	v_addc_co_u32_e32 v9, vcc, 0, v11, vcc
	v_mul_lo_u32 v7, v5, v7
	v_add_co_u32_e32 v7, vcc, v8, v7
	v_addc_co_u32_e32 v8, vcc, 0, v9, vcc
	v_add_co_u32_e32 v4, vcc, v4, v7
	v_addc_co_u32_e32 v5, vcc, v5, v8, vcc
	v_mul_lo_u32 v7, s8, v5
	v_mul_hi_u32 v8, s8, v4
	v_add_u32_e32 v7, v8, v7
	v_mul_lo_u32 v8, s9, v4
	v_add_u32_e32 v7, v7, v8
	v_mul_lo_u32 v9, s8, v4
	v_mul_hi_u32 v10, v5, v9
	v_mul_lo_u32 v11, v5, v9
	v_mul_lo_u32 v13, v4, v7
	v_mul_hi_u32 v9, v4, v9
	v_mul_hi_u32 v12, v4, v7
	v_add_co_u32_e32 v9, vcc, v9, v13
	v_addc_co_u32_e32 v12, vcc, 0, v12, vcc
	v_add_co_u32_e32 v9, vcc, v9, v11
	v_mul_hi_u32 v8, v5, v7
	v_addc_co_u32_e32 v9, vcc, v12, v10, vcc
	v_addc_co_u32_e32 v8, vcc, 0, v8, vcc
	v_mul_lo_u32 v7, v5, v7
	v_add_co_u32_e32 v7, vcc, v9, v7
	v_addc_co_u32_e32 v8, vcc, 0, v8, vcc
	v_add_co_u32_e32 v7, vcc, v4, v7
	v_addc_co_u32_e32 v8, vcc, v5, v8, vcc
	v_mad_u64_u32 v[4:5], s[8:9], v1, v8, 0
	v_mul_hi_u32 v9, v1, v7
	v_add_co_u32_e32 v10, vcc, v9, v4
	v_addc_co_u32_e32 v11, vcc, 0, v5, vcc
	v_mad_u64_u32 v[4:5], s[8:9], v6, v8, 0
	v_mad_u64_u32 v[8:9], s[8:9], v6, v7, 0
	v_add_co_u32_e32 v7, vcc, v10, v8
	v_addc_co_u32_e32 v7, vcc, v11, v9, vcc
	v_addc_co_u32_e32 v5, vcc, 0, v5, vcc
	v_add_co_u32_e32 v7, vcc, v7, v4
	v_addc_co_u32_e32 v8, vcc, 0, v5, vcc
	v_mul_lo_u32 v9, s47, v7
	v_mul_lo_u32 v10, s46, v8
	v_mad_u64_u32 v[4:5], s[8:9], s46, v7, 0
	v_add3_u32 v5, v5, v10, v9
	v_sub_u32_e32 v9, v6, v5
	v_mov_b32_e32 v10, s47
	v_sub_co_u32_e32 v1, vcc, v1, v4
	v_subb_co_u32_e64 v4, s[8:9], v9, v10, vcc
	v_subrev_co_u32_e64 v9, s[8:9], s46, v1
	v_subbrev_co_u32_e64 v4, s[8:9], 0, v4, s[8:9]
	v_cmp_le_u32_e64 s[8:9], s47, v4
	v_cndmask_b32_e64 v10, 0, -1, s[8:9]
	v_cmp_le_u32_e64 s[8:9], s46, v9
	v_cndmask_b32_e64 v9, 0, -1, s[8:9]
	v_cmp_eq_u32_e64 s[8:9], s47, v4
	v_cndmask_b32_e64 v4, v10, v9, s[8:9]
	v_add_co_u32_e64 v9, s[8:9], 2, v7
	v_subb_co_u32_e32 v5, vcc, v6, v5, vcc
	v_addc_co_u32_e64 v10, s[8:9], 0, v8, s[8:9]
	v_cmp_le_u32_e32 vcc, s47, v5
	v_add_co_u32_e64 v11, s[8:9], 1, v7
	v_cndmask_b32_e64 v6, 0, -1, vcc
	v_cmp_le_u32_e32 vcc, s46, v1
	v_addc_co_u32_e64 v12, s[8:9], 0, v8, s[8:9]
	v_cndmask_b32_e64 v1, 0, -1, vcc
	v_cmp_eq_u32_e32 vcc, s47, v5
	v_cmp_ne_u32_e64 s[8:9], 0, v4
	v_cndmask_b32_e32 v1, v6, v1, vcc
	v_cndmask_b32_e64 v4, v12, v10, s[8:9]
	v_cmp_ne_u32_e32 vcc, 0, v1
	v_cndmask_b32_e64 v1, v11, v9, s[8:9]
	v_cndmask_b32_e32 v5, v8, v4, vcc
	v_cndmask_b32_e32 v4, v7, v1, vcc
                                        ; implicit-def: $vgpr1
.LBB6_13:
	s_andn2_saveexec_b64 s[8:9], s[12:13]
	s_cbranch_execz .LBB6_15
; %bb.14:
	v_cvt_f32_u32_e32 v4, s46
	s_sub_i32 s12, 0, s46
	v_rcp_iflag_f32_e32 v4, v4
	v_mul_f32_e32 v4, 0x4f7ffffe, v4
	v_cvt_u32_f32_e32 v4, v4
	v_mul_lo_u32 v5, s12, v4
	v_mul_hi_u32 v5, v4, v5
	v_add_u32_e32 v4, v4, v5
	v_mul_hi_u32 v4, v1, v4
	v_mul_lo_u32 v5, v4, s46
	v_sub_u32_e32 v1, v1, v5
	v_add_u32_e32 v6, 1, v4
	v_subrev_u32_e32 v5, s46, v1
	v_cmp_le_u32_e32 vcc, s46, v1
	v_cndmask_b32_e32 v1, v1, v5, vcc
	v_cndmask_b32_e32 v4, v4, v6, vcc
	v_add_u32_e32 v5, 1, v4
	v_cmp_le_u32_e32 vcc, s46, v1
	v_cndmask_b32_e32 v4, v4, v5, vcc
	v_mov_b32_e32 v5, 0
.LBB6_15:
	s_or_b64 exec, exec, s[8:9]
.LBB6_16:
	s_or_b64 exec, exec, s[10:11]
	v_or_b32_e32 v1, 0x200, v0
	v_cmp_gt_u32_e64 s[8:9], s64, v1
	v_pk_mov_b32 v[6:7], v[54:55], v[54:55] op_sel:[0,1]
	s_and_saveexec_b64 s[12:13], s[8:9]
	s_cbranch_execz .LBB6_22
; %bb.17:
	v_mov_b32_e32 v7, s45
	v_add_co_u32_e32 v1, vcc, s44, v1
	v_addc_co_u32_e32 v8, vcc, 0, v7, vcc
	v_mov_b32_e32 v6, 0
	v_or_b32_e32 v7, s47, v8
	v_cmp_ne_u64_e32 vcc, 0, v[6:7]
                                        ; implicit-def: $vgpr6_vgpr7
	s_and_saveexec_b64 s[10:11], vcc
	s_xor_b64 s[14:15], exec, s[10:11]
	s_cbranch_execz .LBB6_19
; %bb.18:
	v_cvt_f32_u32_e32 v6, s46
	v_cvt_f32_u32_e32 v7, s47
	s_sub_u32 s10, 0, s46
	s_subb_u32 s11, 0, s47
	v_madmk_f32 v6, v7, 0x4f800000, v6
	v_rcp_f32_e32 v6, v6
	v_mul_f32_e32 v6, 0x5f7ffffc, v6
	v_mul_f32_e32 v7, 0x2f800000, v6
	v_trunc_f32_e32 v7, v7
	v_madmk_f32 v6, v7, 0xcf800000, v6
	v_cvt_u32_f32_e32 v7, v7
	v_cvt_u32_f32_e32 v6, v6
	v_mul_lo_u32 v9, s10, v7
	v_mul_hi_u32 v11, s10, v6
	v_mul_lo_u32 v10, s11, v6
	v_add_u32_e32 v9, v11, v9
	v_mul_lo_u32 v12, s10, v6
	v_add_u32_e32 v9, v9, v10
	v_mul_hi_u32 v11, v6, v12
	v_mul_lo_u32 v13, v6, v9
	v_mul_hi_u32 v10, v6, v9
	v_add_co_u32_e32 v11, vcc, v11, v13
	v_addc_co_u32_e32 v10, vcc, 0, v10, vcc
	v_mul_hi_u32 v14, v7, v12
	v_mul_lo_u32 v12, v7, v12
	v_add_co_u32_e32 v11, vcc, v11, v12
	v_mul_hi_u32 v13, v7, v9
	v_addc_co_u32_e32 v10, vcc, v10, v14, vcc
	v_addc_co_u32_e32 v11, vcc, 0, v13, vcc
	v_mul_lo_u32 v9, v7, v9
	v_add_co_u32_e32 v9, vcc, v10, v9
	v_addc_co_u32_e32 v10, vcc, 0, v11, vcc
	v_add_co_u32_e32 v6, vcc, v6, v9
	v_addc_co_u32_e32 v7, vcc, v7, v10, vcc
	v_mul_lo_u32 v9, s10, v7
	v_mul_hi_u32 v10, s10, v6
	v_add_u32_e32 v9, v10, v9
	v_mul_lo_u32 v10, s11, v6
	v_add_u32_e32 v9, v9, v10
	v_mul_lo_u32 v11, s10, v6
	v_mul_hi_u32 v12, v7, v11
	v_mul_lo_u32 v13, v7, v11
	v_mul_lo_u32 v15, v6, v9
	v_mul_hi_u32 v11, v6, v11
	v_mul_hi_u32 v14, v6, v9
	v_add_co_u32_e32 v11, vcc, v11, v15
	v_addc_co_u32_e32 v14, vcc, 0, v14, vcc
	v_add_co_u32_e32 v11, vcc, v11, v13
	v_mul_hi_u32 v10, v7, v9
	v_addc_co_u32_e32 v11, vcc, v14, v12, vcc
	v_addc_co_u32_e32 v10, vcc, 0, v10, vcc
	v_mul_lo_u32 v9, v7, v9
	v_add_co_u32_e32 v9, vcc, v11, v9
	v_addc_co_u32_e32 v10, vcc, 0, v10, vcc
	v_add_co_u32_e32 v9, vcc, v6, v9
	v_addc_co_u32_e32 v10, vcc, v7, v10, vcc
	v_mad_u64_u32 v[6:7], s[10:11], v1, v10, 0
	v_mul_hi_u32 v11, v1, v9
	v_add_co_u32_e32 v12, vcc, v11, v6
	v_addc_co_u32_e32 v13, vcc, 0, v7, vcc
	v_mad_u64_u32 v[6:7], s[10:11], v8, v10, 0
	v_mad_u64_u32 v[10:11], s[10:11], v8, v9, 0
	v_add_co_u32_e32 v9, vcc, v12, v10
	v_addc_co_u32_e32 v9, vcc, v13, v11, vcc
	v_addc_co_u32_e32 v7, vcc, 0, v7, vcc
	v_add_co_u32_e32 v9, vcc, v9, v6
	v_addc_co_u32_e32 v10, vcc, 0, v7, vcc
	v_mul_lo_u32 v11, s47, v9
	v_mul_lo_u32 v12, s46, v10
	v_mad_u64_u32 v[6:7], s[10:11], s46, v9, 0
	v_add3_u32 v7, v7, v12, v11
	v_sub_u32_e32 v11, v8, v7
	v_mov_b32_e32 v12, s47
	v_sub_co_u32_e32 v1, vcc, v1, v6
	v_subb_co_u32_e64 v6, s[10:11], v11, v12, vcc
	v_subrev_co_u32_e64 v11, s[10:11], s46, v1
	v_subbrev_co_u32_e64 v6, s[10:11], 0, v6, s[10:11]
	v_cmp_le_u32_e64 s[10:11], s47, v6
	v_cndmask_b32_e64 v12, 0, -1, s[10:11]
	v_cmp_le_u32_e64 s[10:11], s46, v11
	v_cndmask_b32_e64 v11, 0, -1, s[10:11]
	v_cmp_eq_u32_e64 s[10:11], s47, v6
	v_cndmask_b32_e64 v6, v12, v11, s[10:11]
	v_add_co_u32_e64 v11, s[10:11], 2, v9
	v_subb_co_u32_e32 v7, vcc, v8, v7, vcc
	v_addc_co_u32_e64 v12, s[10:11], 0, v10, s[10:11]
	v_cmp_le_u32_e32 vcc, s47, v7
	v_add_co_u32_e64 v13, s[10:11], 1, v9
	v_cndmask_b32_e64 v8, 0, -1, vcc
	v_cmp_le_u32_e32 vcc, s46, v1
	v_addc_co_u32_e64 v14, s[10:11], 0, v10, s[10:11]
	v_cndmask_b32_e64 v1, 0, -1, vcc
	v_cmp_eq_u32_e32 vcc, s47, v7
	v_cmp_ne_u32_e64 s[10:11], 0, v6
	v_cndmask_b32_e32 v1, v8, v1, vcc
	v_cndmask_b32_e64 v6, v14, v12, s[10:11]
	v_cmp_ne_u32_e32 vcc, 0, v1
	v_cndmask_b32_e64 v1, v13, v11, s[10:11]
	v_cndmask_b32_e32 v7, v10, v6, vcc
	v_cndmask_b32_e32 v6, v9, v1, vcc
                                        ; implicit-def: $vgpr1
.LBB6_19:
	s_andn2_saveexec_b64 s[10:11], s[14:15]
	s_cbranch_execz .LBB6_21
; %bb.20:
	v_cvt_f32_u32_e32 v6, s46
	s_sub_i32 s14, 0, s46
	v_rcp_iflag_f32_e32 v6, v6
	v_mul_f32_e32 v6, 0x4f7ffffe, v6
	v_cvt_u32_f32_e32 v6, v6
	v_mul_lo_u32 v7, s14, v6
	v_mul_hi_u32 v7, v6, v7
	v_add_u32_e32 v6, v6, v7
	v_mul_hi_u32 v6, v1, v6
	v_mul_lo_u32 v7, v6, s46
	v_sub_u32_e32 v1, v1, v7
	v_add_u32_e32 v8, 1, v6
	v_subrev_u32_e32 v7, s46, v1
	v_cmp_le_u32_e32 vcc, s46, v1
	v_cndmask_b32_e32 v1, v1, v7, vcc
	v_cndmask_b32_e32 v6, v6, v8, vcc
	v_add_u32_e32 v7, 1, v6
	v_cmp_le_u32_e32 vcc, s46, v1
	v_cndmask_b32_e32 v6, v6, v7, vcc
	v_mov_b32_e32 v7, 0
.LBB6_21:
	s_or_b64 exec, exec, s[10:11]
.LBB6_22:
	s_or_b64 exec, exec, s[12:13]
	v_or_b32_e32 v1, 0x300, v0
	v_cmp_gt_u32_e64 s[10:11], s64, v1
	v_pk_mov_b32 v[8:9], v[54:55], v[54:55] op_sel:[0,1]
	s_and_saveexec_b64 s[14:15], s[10:11]
	s_cbranch_execz .LBB6_28
; %bb.23:
	v_mov_b32_e32 v9, s45
	v_add_co_u32_e32 v1, vcc, s44, v1
	v_addc_co_u32_e32 v10, vcc, 0, v9, vcc
	v_mov_b32_e32 v8, 0
	v_or_b32_e32 v9, s47, v10
	v_cmp_ne_u64_e32 vcc, 0, v[8:9]
                                        ; implicit-def: $vgpr8_vgpr9
	s_and_saveexec_b64 s[12:13], vcc
	s_xor_b64 s[16:17], exec, s[12:13]
	s_cbranch_execz .LBB6_25
; %bb.24:
	v_cvt_f32_u32_e32 v8, s46
	v_cvt_f32_u32_e32 v9, s47
	s_sub_u32 s12, 0, s46
	s_subb_u32 s13, 0, s47
	v_madmk_f32 v8, v9, 0x4f800000, v8
	v_rcp_f32_e32 v8, v8
	v_mul_f32_e32 v8, 0x5f7ffffc, v8
	v_mul_f32_e32 v9, 0x2f800000, v8
	v_trunc_f32_e32 v9, v9
	v_madmk_f32 v8, v9, 0xcf800000, v8
	v_cvt_u32_f32_e32 v9, v9
	v_cvt_u32_f32_e32 v8, v8
	v_mul_lo_u32 v11, s12, v9
	v_mul_hi_u32 v13, s12, v8
	v_mul_lo_u32 v12, s13, v8
	v_add_u32_e32 v11, v13, v11
	v_mul_lo_u32 v14, s12, v8
	v_add_u32_e32 v11, v11, v12
	v_mul_hi_u32 v13, v8, v14
	v_mul_lo_u32 v15, v8, v11
	v_mul_hi_u32 v12, v8, v11
	v_add_co_u32_e32 v13, vcc, v13, v15
	v_addc_co_u32_e32 v12, vcc, 0, v12, vcc
	v_mul_hi_u32 v16, v9, v14
	v_mul_lo_u32 v14, v9, v14
	v_add_co_u32_e32 v13, vcc, v13, v14
	v_mul_hi_u32 v15, v9, v11
	v_addc_co_u32_e32 v12, vcc, v12, v16, vcc
	v_addc_co_u32_e32 v13, vcc, 0, v15, vcc
	v_mul_lo_u32 v11, v9, v11
	v_add_co_u32_e32 v11, vcc, v12, v11
	v_addc_co_u32_e32 v12, vcc, 0, v13, vcc
	v_add_co_u32_e32 v8, vcc, v8, v11
	v_addc_co_u32_e32 v9, vcc, v9, v12, vcc
	v_mul_lo_u32 v11, s12, v9
	v_mul_hi_u32 v12, s12, v8
	v_add_u32_e32 v11, v12, v11
	v_mul_lo_u32 v12, s13, v8
	v_add_u32_e32 v11, v11, v12
	v_mul_lo_u32 v13, s12, v8
	v_mul_hi_u32 v14, v9, v13
	v_mul_lo_u32 v15, v9, v13
	v_mul_lo_u32 v17, v8, v11
	v_mul_hi_u32 v13, v8, v13
	v_mul_hi_u32 v16, v8, v11
	v_add_co_u32_e32 v13, vcc, v13, v17
	v_addc_co_u32_e32 v16, vcc, 0, v16, vcc
	v_add_co_u32_e32 v13, vcc, v13, v15
	v_mul_hi_u32 v12, v9, v11
	v_addc_co_u32_e32 v13, vcc, v16, v14, vcc
	v_addc_co_u32_e32 v12, vcc, 0, v12, vcc
	v_mul_lo_u32 v11, v9, v11
	v_add_co_u32_e32 v11, vcc, v13, v11
	v_addc_co_u32_e32 v12, vcc, 0, v12, vcc
	v_add_co_u32_e32 v11, vcc, v8, v11
	v_addc_co_u32_e32 v12, vcc, v9, v12, vcc
	v_mad_u64_u32 v[8:9], s[12:13], v1, v12, 0
	v_mul_hi_u32 v13, v1, v11
	v_add_co_u32_e32 v14, vcc, v13, v8
	v_addc_co_u32_e32 v15, vcc, 0, v9, vcc
	v_mad_u64_u32 v[8:9], s[12:13], v10, v12, 0
	v_mad_u64_u32 v[12:13], s[12:13], v10, v11, 0
	v_add_co_u32_e32 v11, vcc, v14, v12
	v_addc_co_u32_e32 v11, vcc, v15, v13, vcc
	v_addc_co_u32_e32 v9, vcc, 0, v9, vcc
	v_add_co_u32_e32 v11, vcc, v11, v8
	v_addc_co_u32_e32 v12, vcc, 0, v9, vcc
	v_mul_lo_u32 v13, s47, v11
	v_mul_lo_u32 v14, s46, v12
	v_mad_u64_u32 v[8:9], s[12:13], s46, v11, 0
	v_add3_u32 v9, v9, v14, v13
	v_sub_u32_e32 v13, v10, v9
	v_mov_b32_e32 v14, s47
	v_sub_co_u32_e32 v1, vcc, v1, v8
	v_subb_co_u32_e64 v8, s[12:13], v13, v14, vcc
	v_subrev_co_u32_e64 v13, s[12:13], s46, v1
	v_subbrev_co_u32_e64 v8, s[12:13], 0, v8, s[12:13]
	v_cmp_le_u32_e64 s[12:13], s47, v8
	v_cndmask_b32_e64 v14, 0, -1, s[12:13]
	v_cmp_le_u32_e64 s[12:13], s46, v13
	v_cndmask_b32_e64 v13, 0, -1, s[12:13]
	v_cmp_eq_u32_e64 s[12:13], s47, v8
	v_cndmask_b32_e64 v8, v14, v13, s[12:13]
	v_add_co_u32_e64 v13, s[12:13], 2, v11
	v_subb_co_u32_e32 v9, vcc, v10, v9, vcc
	v_addc_co_u32_e64 v14, s[12:13], 0, v12, s[12:13]
	v_cmp_le_u32_e32 vcc, s47, v9
	v_add_co_u32_e64 v15, s[12:13], 1, v11
	v_cndmask_b32_e64 v10, 0, -1, vcc
	v_cmp_le_u32_e32 vcc, s46, v1
	v_addc_co_u32_e64 v16, s[12:13], 0, v12, s[12:13]
	v_cndmask_b32_e64 v1, 0, -1, vcc
	v_cmp_eq_u32_e32 vcc, s47, v9
	v_cmp_ne_u32_e64 s[12:13], 0, v8
	v_cndmask_b32_e32 v1, v10, v1, vcc
	v_cndmask_b32_e64 v8, v16, v14, s[12:13]
	v_cmp_ne_u32_e32 vcc, 0, v1
	v_cndmask_b32_e64 v1, v15, v13, s[12:13]
	v_cndmask_b32_e32 v9, v12, v8, vcc
	v_cndmask_b32_e32 v8, v11, v1, vcc
                                        ; implicit-def: $vgpr1
.LBB6_25:
	s_andn2_saveexec_b64 s[12:13], s[16:17]
	s_cbranch_execz .LBB6_27
; %bb.26:
	v_cvt_f32_u32_e32 v8, s46
	s_sub_i32 s16, 0, s46
	v_rcp_iflag_f32_e32 v8, v8
	v_mul_f32_e32 v8, 0x4f7ffffe, v8
	v_cvt_u32_f32_e32 v8, v8
	v_mul_lo_u32 v9, s16, v8
	v_mul_hi_u32 v9, v8, v9
	v_add_u32_e32 v8, v8, v9
	v_mul_hi_u32 v8, v1, v8
	v_mul_lo_u32 v9, v8, s46
	v_sub_u32_e32 v1, v1, v9
	v_add_u32_e32 v10, 1, v8
	v_subrev_u32_e32 v9, s46, v1
	v_cmp_le_u32_e32 vcc, s46, v1
	v_cndmask_b32_e32 v1, v1, v9, vcc
	v_cndmask_b32_e32 v8, v8, v10, vcc
	v_add_u32_e32 v9, 1, v8
	v_cmp_le_u32_e32 vcc, s46, v1
	v_cndmask_b32_e32 v8, v8, v9, vcc
	v_mov_b32_e32 v9, 0
.LBB6_27:
	s_or_b64 exec, exec, s[12:13]
.LBB6_28:
	s_or_b64 exec, exec, s[14:15]
	v_or_b32_e32 v1, 0x400, v0
	v_cmp_gt_u32_e64 s[12:13], s64, v1
	v_pk_mov_b32 v[10:11], v[54:55], v[54:55] op_sel:[0,1]
	s_and_saveexec_b64 s[16:17], s[12:13]
	s_cbranch_execz .LBB6_34
; %bb.29:
	v_mov_b32_e32 v11, s45
	v_add_co_u32_e32 v12, vcc, s44, v1
	v_addc_co_u32_e32 v13, vcc, 0, v11, vcc
	v_mov_b32_e32 v10, 0
	v_or_b32_e32 v11, s47, v13
	v_cmp_ne_u64_e32 vcc, 0, v[10:11]
                                        ; implicit-def: $vgpr10_vgpr11
	s_and_saveexec_b64 s[14:15], vcc
	s_xor_b64 s[18:19], exec, s[14:15]
	s_cbranch_execz .LBB6_31
; %bb.30:
	v_cvt_f32_u32_e32 v10, s46
	v_cvt_f32_u32_e32 v11, s47
	s_sub_u32 s14, 0, s46
	s_subb_u32 s15, 0, s47
	v_madmk_f32 v10, v11, 0x4f800000, v10
	v_rcp_f32_e32 v10, v10
	v_mul_f32_e32 v10, 0x5f7ffffc, v10
	v_mul_f32_e32 v11, 0x2f800000, v10
	v_trunc_f32_e32 v11, v11
	v_madmk_f32 v10, v11, 0xcf800000, v10
	v_cvt_u32_f32_e32 v11, v11
	v_cvt_u32_f32_e32 v10, v10
	v_mul_lo_u32 v14, s14, v11
	v_mul_hi_u32 v16, s14, v10
	v_mul_lo_u32 v15, s15, v10
	v_add_u32_e32 v14, v16, v14
	v_mul_lo_u32 v17, s14, v10
	v_add_u32_e32 v14, v14, v15
	v_mul_hi_u32 v16, v10, v17
	v_mul_lo_u32 v18, v10, v14
	v_mul_hi_u32 v15, v10, v14
	v_add_co_u32_e32 v16, vcc, v16, v18
	v_addc_co_u32_e32 v15, vcc, 0, v15, vcc
	v_mul_hi_u32 v19, v11, v17
	v_mul_lo_u32 v17, v11, v17
	v_add_co_u32_e32 v16, vcc, v16, v17
	v_mul_hi_u32 v18, v11, v14
	v_addc_co_u32_e32 v15, vcc, v15, v19, vcc
	v_addc_co_u32_e32 v16, vcc, 0, v18, vcc
	v_mul_lo_u32 v14, v11, v14
	v_add_co_u32_e32 v14, vcc, v15, v14
	v_addc_co_u32_e32 v15, vcc, 0, v16, vcc
	v_add_co_u32_e32 v10, vcc, v10, v14
	v_addc_co_u32_e32 v11, vcc, v11, v15, vcc
	v_mul_lo_u32 v14, s14, v11
	v_mul_hi_u32 v15, s14, v10
	v_add_u32_e32 v14, v15, v14
	v_mul_lo_u32 v15, s15, v10
	v_add_u32_e32 v14, v14, v15
	v_mul_lo_u32 v16, s14, v10
	v_mul_hi_u32 v17, v11, v16
	v_mul_lo_u32 v18, v11, v16
	v_mul_lo_u32 v20, v10, v14
	v_mul_hi_u32 v16, v10, v16
	v_mul_hi_u32 v19, v10, v14
	v_add_co_u32_e32 v16, vcc, v16, v20
	v_addc_co_u32_e32 v19, vcc, 0, v19, vcc
	v_add_co_u32_e32 v16, vcc, v16, v18
	v_mul_hi_u32 v15, v11, v14
	v_addc_co_u32_e32 v16, vcc, v19, v17, vcc
	v_addc_co_u32_e32 v15, vcc, 0, v15, vcc
	v_mul_lo_u32 v14, v11, v14
	v_add_co_u32_e32 v14, vcc, v16, v14
	v_addc_co_u32_e32 v15, vcc, 0, v15, vcc
	v_add_co_u32_e32 v14, vcc, v10, v14
	v_addc_co_u32_e32 v15, vcc, v11, v15, vcc
	v_mad_u64_u32 v[10:11], s[14:15], v12, v15, 0
	v_mul_hi_u32 v16, v12, v14
	v_add_co_u32_e32 v16, vcc, v16, v10
	v_addc_co_u32_e32 v17, vcc, 0, v11, vcc
	v_mad_u64_u32 v[10:11], s[14:15], v13, v15, 0
	v_mad_u64_u32 v[14:15], s[14:15], v13, v14, 0
	v_add_co_u32_e32 v14, vcc, v16, v14
	v_addc_co_u32_e32 v14, vcc, v17, v15, vcc
	v_addc_co_u32_e32 v11, vcc, 0, v11, vcc
	v_add_co_u32_e32 v14, vcc, v14, v10
	v_addc_co_u32_e32 v15, vcc, 0, v11, vcc
	v_mul_lo_u32 v16, s47, v14
	v_mul_lo_u32 v17, s46, v15
	v_mad_u64_u32 v[10:11], s[14:15], s46, v14, 0
	v_add3_u32 v11, v11, v17, v16
	v_sub_u32_e32 v16, v13, v11
	v_mov_b32_e32 v17, s47
	v_sub_co_u32_e32 v10, vcc, v12, v10
	v_subb_co_u32_e64 v12, s[14:15], v16, v17, vcc
	v_subrev_co_u32_e64 v16, s[14:15], s46, v10
	v_subbrev_co_u32_e64 v12, s[14:15], 0, v12, s[14:15]
	v_cmp_le_u32_e64 s[14:15], s47, v12
	v_cndmask_b32_e64 v17, 0, -1, s[14:15]
	v_cmp_le_u32_e64 s[14:15], s46, v16
	v_cndmask_b32_e64 v16, 0, -1, s[14:15]
	v_cmp_eq_u32_e64 s[14:15], s47, v12
	v_cndmask_b32_e64 v12, v17, v16, s[14:15]
	v_add_co_u32_e64 v16, s[14:15], 2, v14
	v_subb_co_u32_e32 v11, vcc, v13, v11, vcc
	v_addc_co_u32_e64 v17, s[14:15], 0, v15, s[14:15]
	v_cmp_le_u32_e32 vcc, s47, v11
	v_add_co_u32_e64 v18, s[14:15], 1, v14
	v_cndmask_b32_e64 v13, 0, -1, vcc
	v_cmp_le_u32_e32 vcc, s46, v10
	v_addc_co_u32_e64 v19, s[14:15], 0, v15, s[14:15]
	v_cndmask_b32_e64 v10, 0, -1, vcc
	v_cmp_eq_u32_e32 vcc, s47, v11
	v_cmp_ne_u32_e64 s[14:15], 0, v12
	v_cndmask_b32_e32 v10, v13, v10, vcc
	v_cndmask_b32_e64 v12, v19, v17, s[14:15]
	v_cmp_ne_u32_e32 vcc, 0, v10
	v_cndmask_b32_e64 v10, v18, v16, s[14:15]
	v_cndmask_b32_e32 v11, v15, v12, vcc
	v_cndmask_b32_e32 v10, v14, v10, vcc
                                        ; implicit-def: $vgpr12
.LBB6_31:
	s_andn2_saveexec_b64 s[14:15], s[18:19]
	s_cbranch_execz .LBB6_33
; %bb.32:
	v_cvt_f32_u32_e32 v10, s46
	s_sub_i32 s18, 0, s46
	v_rcp_iflag_f32_e32 v10, v10
	v_mul_f32_e32 v10, 0x4f7ffffe, v10
	v_cvt_u32_f32_e32 v10, v10
	v_mul_lo_u32 v11, s18, v10
	v_mul_hi_u32 v11, v10, v11
	v_add_u32_e32 v10, v10, v11
	v_mul_hi_u32 v10, v12, v10
	v_mul_lo_u32 v11, v10, s46
	v_sub_u32_e32 v11, v12, v11
	v_add_u32_e32 v13, 1, v10
	v_subrev_u32_e32 v12, s46, v11
	v_cmp_le_u32_e32 vcc, s46, v11
	v_cndmask_b32_e32 v11, v11, v12, vcc
	v_cndmask_b32_e32 v10, v10, v13, vcc
	v_add_u32_e32 v12, 1, v10
	v_cmp_le_u32_e32 vcc, s46, v11
	v_cndmask_b32_e32 v10, v10, v12, vcc
	v_mov_b32_e32 v11, 0
.LBB6_33:
	s_or_b64 exec, exec, s[14:15]
.LBB6_34:
	s_or_b64 exec, exec, s[16:17]
	v_or_b32_e32 v56, 0x500, v0
	v_cmp_gt_u32_e64 s[14:15], s64, v56
	v_pk_mov_b32 v[12:13], v[54:55], v[54:55] op_sel:[0,1]
	s_and_saveexec_b64 s[18:19], s[14:15]
	s_cbranch_execz .LBB6_40
; %bb.35:
	v_mov_b32_e32 v13, s45
	v_add_co_u32_e32 v14, vcc, s44, v56
	v_addc_co_u32_e32 v15, vcc, 0, v13, vcc
	v_mov_b32_e32 v12, 0
	v_or_b32_e32 v13, s47, v15
	v_cmp_ne_u64_e32 vcc, 0, v[12:13]
                                        ; implicit-def: $vgpr12_vgpr13
	s_and_saveexec_b64 s[16:17], vcc
	s_xor_b64 s[20:21], exec, s[16:17]
	s_cbranch_execz .LBB6_37
; %bb.36:
	v_cvt_f32_u32_e32 v12, s46
	v_cvt_f32_u32_e32 v13, s47
	s_sub_u32 s16, 0, s46
	s_subb_u32 s17, 0, s47
	v_madmk_f32 v12, v13, 0x4f800000, v12
	v_rcp_f32_e32 v12, v12
	v_mul_f32_e32 v12, 0x5f7ffffc, v12
	v_mul_f32_e32 v13, 0x2f800000, v12
	v_trunc_f32_e32 v13, v13
	v_madmk_f32 v12, v13, 0xcf800000, v12
	v_cvt_u32_f32_e32 v13, v13
	v_cvt_u32_f32_e32 v12, v12
	v_mul_lo_u32 v16, s16, v13
	v_mul_hi_u32 v18, s16, v12
	v_mul_lo_u32 v17, s17, v12
	v_add_u32_e32 v16, v18, v16
	v_mul_lo_u32 v19, s16, v12
	v_add_u32_e32 v16, v16, v17
	v_mul_hi_u32 v18, v12, v19
	v_mul_lo_u32 v20, v12, v16
	v_mul_hi_u32 v17, v12, v16
	v_add_co_u32_e32 v18, vcc, v18, v20
	v_addc_co_u32_e32 v17, vcc, 0, v17, vcc
	v_mul_hi_u32 v21, v13, v19
	v_mul_lo_u32 v19, v13, v19
	v_add_co_u32_e32 v18, vcc, v18, v19
	v_mul_hi_u32 v20, v13, v16
	v_addc_co_u32_e32 v17, vcc, v17, v21, vcc
	v_addc_co_u32_e32 v18, vcc, 0, v20, vcc
	v_mul_lo_u32 v16, v13, v16
	v_add_co_u32_e32 v16, vcc, v17, v16
	v_addc_co_u32_e32 v17, vcc, 0, v18, vcc
	v_add_co_u32_e32 v12, vcc, v12, v16
	v_addc_co_u32_e32 v13, vcc, v13, v17, vcc
	v_mul_lo_u32 v16, s16, v13
	v_mul_hi_u32 v17, s16, v12
	v_add_u32_e32 v16, v17, v16
	v_mul_lo_u32 v17, s17, v12
	v_add_u32_e32 v16, v16, v17
	v_mul_lo_u32 v18, s16, v12
	v_mul_hi_u32 v19, v13, v18
	v_mul_lo_u32 v20, v13, v18
	v_mul_lo_u32 v22, v12, v16
	v_mul_hi_u32 v18, v12, v18
	v_mul_hi_u32 v21, v12, v16
	v_add_co_u32_e32 v18, vcc, v18, v22
	v_addc_co_u32_e32 v21, vcc, 0, v21, vcc
	v_add_co_u32_e32 v18, vcc, v18, v20
	v_mul_hi_u32 v17, v13, v16
	v_addc_co_u32_e32 v18, vcc, v21, v19, vcc
	v_addc_co_u32_e32 v17, vcc, 0, v17, vcc
	v_mul_lo_u32 v16, v13, v16
	v_add_co_u32_e32 v16, vcc, v18, v16
	v_addc_co_u32_e32 v17, vcc, 0, v17, vcc
	v_add_co_u32_e32 v16, vcc, v12, v16
	v_addc_co_u32_e32 v17, vcc, v13, v17, vcc
	v_mad_u64_u32 v[12:13], s[16:17], v14, v17, 0
	v_mul_hi_u32 v18, v14, v16
	v_add_co_u32_e32 v18, vcc, v18, v12
	v_addc_co_u32_e32 v19, vcc, 0, v13, vcc
	v_mad_u64_u32 v[12:13], s[16:17], v15, v17, 0
	v_mad_u64_u32 v[16:17], s[16:17], v15, v16, 0
	v_add_co_u32_e32 v16, vcc, v18, v16
	v_addc_co_u32_e32 v16, vcc, v19, v17, vcc
	v_addc_co_u32_e32 v13, vcc, 0, v13, vcc
	v_add_co_u32_e32 v16, vcc, v16, v12
	v_addc_co_u32_e32 v17, vcc, 0, v13, vcc
	v_mul_lo_u32 v18, s47, v16
	v_mul_lo_u32 v19, s46, v17
	v_mad_u64_u32 v[12:13], s[16:17], s46, v16, 0
	v_add3_u32 v13, v13, v19, v18
	v_sub_u32_e32 v18, v15, v13
	v_mov_b32_e32 v19, s47
	v_sub_co_u32_e32 v12, vcc, v14, v12
	v_subb_co_u32_e64 v14, s[16:17], v18, v19, vcc
	v_subrev_co_u32_e64 v18, s[16:17], s46, v12
	v_subbrev_co_u32_e64 v14, s[16:17], 0, v14, s[16:17]
	v_cmp_le_u32_e64 s[16:17], s47, v14
	v_cndmask_b32_e64 v19, 0, -1, s[16:17]
	v_cmp_le_u32_e64 s[16:17], s46, v18
	v_cndmask_b32_e64 v18, 0, -1, s[16:17]
	v_cmp_eq_u32_e64 s[16:17], s47, v14
	v_cndmask_b32_e64 v14, v19, v18, s[16:17]
	v_add_co_u32_e64 v18, s[16:17], 2, v16
	v_subb_co_u32_e32 v13, vcc, v15, v13, vcc
	v_addc_co_u32_e64 v19, s[16:17], 0, v17, s[16:17]
	v_cmp_le_u32_e32 vcc, s47, v13
	v_add_co_u32_e64 v20, s[16:17], 1, v16
	v_cndmask_b32_e64 v15, 0, -1, vcc
	v_cmp_le_u32_e32 vcc, s46, v12
	v_addc_co_u32_e64 v21, s[16:17], 0, v17, s[16:17]
	v_cndmask_b32_e64 v12, 0, -1, vcc
	v_cmp_eq_u32_e32 vcc, s47, v13
	v_cmp_ne_u32_e64 s[16:17], 0, v14
	v_cndmask_b32_e32 v12, v15, v12, vcc
	v_cndmask_b32_e64 v14, v21, v19, s[16:17]
	v_cmp_ne_u32_e32 vcc, 0, v12
	v_cndmask_b32_e64 v12, v20, v18, s[16:17]
	v_cndmask_b32_e32 v13, v17, v14, vcc
	v_cndmask_b32_e32 v12, v16, v12, vcc
                                        ; implicit-def: $vgpr14
.LBB6_37:
	s_andn2_saveexec_b64 s[16:17], s[20:21]
	s_cbranch_execz .LBB6_39
; %bb.38:
	v_cvt_f32_u32_e32 v12, s46
	s_sub_i32 s20, 0, s46
	v_rcp_iflag_f32_e32 v12, v12
	v_mul_f32_e32 v12, 0x4f7ffffe, v12
	v_cvt_u32_f32_e32 v12, v12
	v_mul_lo_u32 v13, s20, v12
	v_mul_hi_u32 v13, v12, v13
	v_add_u32_e32 v12, v12, v13
	v_mul_hi_u32 v12, v14, v12
	v_mul_lo_u32 v13, v12, s46
	v_sub_u32_e32 v13, v14, v13
	v_add_u32_e32 v15, 1, v12
	v_subrev_u32_e32 v14, s46, v13
	v_cmp_le_u32_e32 vcc, s46, v13
	v_cndmask_b32_e32 v13, v13, v14, vcc
	v_cndmask_b32_e32 v12, v12, v15, vcc
	v_add_u32_e32 v14, 1, v12
	v_cmp_le_u32_e32 vcc, s46, v13
	v_cndmask_b32_e32 v12, v12, v14, vcc
	v_mov_b32_e32 v13, 0
.LBB6_39:
	s_or_b64 exec, exec, s[16:17]
.LBB6_40:
	s_or_b64 exec, exec, s[18:19]
	v_or_b32_e32 v57, 0x600, v0
	v_cmp_gt_u32_e64 s[16:17], s64, v57
	v_pk_mov_b32 v[14:15], v[54:55], v[54:55] op_sel:[0,1]
	s_and_saveexec_b64 s[20:21], s[16:17]
	s_cbranch_execz .LBB6_46
; %bb.41:
	v_mov_b32_e32 v15, s45
	v_add_co_u32_e32 v16, vcc, s44, v57
	v_addc_co_u32_e32 v17, vcc, 0, v15, vcc
	v_mov_b32_e32 v14, 0
	v_or_b32_e32 v15, s47, v17
	v_cmp_ne_u64_e32 vcc, 0, v[14:15]
                                        ; implicit-def: $vgpr14_vgpr15
	s_and_saveexec_b64 s[18:19], vcc
	s_xor_b64 s[22:23], exec, s[18:19]
	s_cbranch_execz .LBB6_43
; %bb.42:
	v_cvt_f32_u32_e32 v14, s46
	v_cvt_f32_u32_e32 v15, s47
	s_sub_u32 s18, 0, s46
	s_subb_u32 s19, 0, s47
	v_madmk_f32 v14, v15, 0x4f800000, v14
	v_rcp_f32_e32 v14, v14
	v_mul_f32_e32 v14, 0x5f7ffffc, v14
	v_mul_f32_e32 v15, 0x2f800000, v14
	v_trunc_f32_e32 v15, v15
	v_madmk_f32 v14, v15, 0xcf800000, v14
	v_cvt_u32_f32_e32 v15, v15
	v_cvt_u32_f32_e32 v14, v14
	v_mul_lo_u32 v18, s18, v15
	v_mul_hi_u32 v20, s18, v14
	v_mul_lo_u32 v19, s19, v14
	v_add_u32_e32 v18, v20, v18
	v_mul_lo_u32 v21, s18, v14
	v_add_u32_e32 v18, v18, v19
	v_mul_hi_u32 v20, v14, v21
	v_mul_lo_u32 v22, v14, v18
	v_mul_hi_u32 v19, v14, v18
	v_add_co_u32_e32 v20, vcc, v20, v22
	v_addc_co_u32_e32 v19, vcc, 0, v19, vcc
	v_mul_hi_u32 v23, v15, v21
	v_mul_lo_u32 v21, v15, v21
	v_add_co_u32_e32 v20, vcc, v20, v21
	v_mul_hi_u32 v22, v15, v18
	v_addc_co_u32_e32 v19, vcc, v19, v23, vcc
	v_addc_co_u32_e32 v20, vcc, 0, v22, vcc
	v_mul_lo_u32 v18, v15, v18
	v_add_co_u32_e32 v18, vcc, v19, v18
	v_addc_co_u32_e32 v19, vcc, 0, v20, vcc
	v_add_co_u32_e32 v14, vcc, v14, v18
	v_addc_co_u32_e32 v15, vcc, v15, v19, vcc
	v_mul_lo_u32 v18, s18, v15
	v_mul_hi_u32 v19, s18, v14
	v_add_u32_e32 v18, v19, v18
	v_mul_lo_u32 v19, s19, v14
	v_add_u32_e32 v18, v18, v19
	v_mul_lo_u32 v20, s18, v14
	v_mul_hi_u32 v21, v15, v20
	v_mul_lo_u32 v22, v15, v20
	v_mul_lo_u32 v24, v14, v18
	v_mul_hi_u32 v20, v14, v20
	v_mul_hi_u32 v23, v14, v18
	v_add_co_u32_e32 v20, vcc, v20, v24
	v_addc_co_u32_e32 v23, vcc, 0, v23, vcc
	v_add_co_u32_e32 v20, vcc, v20, v22
	v_mul_hi_u32 v19, v15, v18
	v_addc_co_u32_e32 v20, vcc, v23, v21, vcc
	v_addc_co_u32_e32 v19, vcc, 0, v19, vcc
	v_mul_lo_u32 v18, v15, v18
	v_add_co_u32_e32 v18, vcc, v20, v18
	v_addc_co_u32_e32 v19, vcc, 0, v19, vcc
	v_add_co_u32_e32 v18, vcc, v14, v18
	v_addc_co_u32_e32 v19, vcc, v15, v19, vcc
	v_mad_u64_u32 v[14:15], s[18:19], v16, v19, 0
	v_mul_hi_u32 v20, v16, v18
	v_add_co_u32_e32 v20, vcc, v20, v14
	v_addc_co_u32_e32 v21, vcc, 0, v15, vcc
	v_mad_u64_u32 v[14:15], s[18:19], v17, v19, 0
	v_mad_u64_u32 v[18:19], s[18:19], v17, v18, 0
	v_add_co_u32_e32 v18, vcc, v20, v18
	v_addc_co_u32_e32 v18, vcc, v21, v19, vcc
	v_addc_co_u32_e32 v15, vcc, 0, v15, vcc
	v_add_co_u32_e32 v18, vcc, v18, v14
	v_addc_co_u32_e32 v19, vcc, 0, v15, vcc
	v_mul_lo_u32 v20, s47, v18
	v_mul_lo_u32 v21, s46, v19
	v_mad_u64_u32 v[14:15], s[18:19], s46, v18, 0
	v_add3_u32 v15, v15, v21, v20
	v_sub_u32_e32 v20, v17, v15
	v_mov_b32_e32 v21, s47
	v_sub_co_u32_e32 v14, vcc, v16, v14
	v_subb_co_u32_e64 v16, s[18:19], v20, v21, vcc
	v_subrev_co_u32_e64 v20, s[18:19], s46, v14
	v_subbrev_co_u32_e64 v16, s[18:19], 0, v16, s[18:19]
	v_cmp_le_u32_e64 s[18:19], s47, v16
	v_cndmask_b32_e64 v21, 0, -1, s[18:19]
	v_cmp_le_u32_e64 s[18:19], s46, v20
	v_cndmask_b32_e64 v20, 0, -1, s[18:19]
	v_cmp_eq_u32_e64 s[18:19], s47, v16
	v_cndmask_b32_e64 v16, v21, v20, s[18:19]
	v_add_co_u32_e64 v20, s[18:19], 2, v18
	v_subb_co_u32_e32 v15, vcc, v17, v15, vcc
	v_addc_co_u32_e64 v21, s[18:19], 0, v19, s[18:19]
	v_cmp_le_u32_e32 vcc, s47, v15
	v_add_co_u32_e64 v22, s[18:19], 1, v18
	v_cndmask_b32_e64 v17, 0, -1, vcc
	v_cmp_le_u32_e32 vcc, s46, v14
	v_addc_co_u32_e64 v23, s[18:19], 0, v19, s[18:19]
	v_cndmask_b32_e64 v14, 0, -1, vcc
	v_cmp_eq_u32_e32 vcc, s47, v15
	v_cmp_ne_u32_e64 s[18:19], 0, v16
	v_cndmask_b32_e32 v14, v17, v14, vcc
	v_cndmask_b32_e64 v16, v23, v21, s[18:19]
	v_cmp_ne_u32_e32 vcc, 0, v14
	v_cndmask_b32_e64 v14, v22, v20, s[18:19]
	v_cndmask_b32_e32 v15, v19, v16, vcc
	v_cndmask_b32_e32 v14, v18, v14, vcc
                                        ; implicit-def: $vgpr16
.LBB6_43:
	s_andn2_saveexec_b64 s[18:19], s[22:23]
	s_cbranch_execz .LBB6_45
; %bb.44:
	v_cvt_f32_u32_e32 v14, s46
	s_sub_i32 s22, 0, s46
	v_rcp_iflag_f32_e32 v14, v14
	v_mul_f32_e32 v14, 0x4f7ffffe, v14
	v_cvt_u32_f32_e32 v14, v14
	v_mul_lo_u32 v15, s22, v14
	v_mul_hi_u32 v15, v14, v15
	v_add_u32_e32 v14, v14, v15
	v_mul_hi_u32 v14, v16, v14
	v_mul_lo_u32 v15, v14, s46
	v_sub_u32_e32 v15, v16, v15
	v_add_u32_e32 v17, 1, v14
	v_subrev_u32_e32 v16, s46, v15
	v_cmp_le_u32_e32 vcc, s46, v15
	v_cndmask_b32_e32 v15, v15, v16, vcc
	v_cndmask_b32_e32 v14, v14, v17, vcc
	v_add_u32_e32 v16, 1, v14
	v_cmp_le_u32_e32 vcc, s46, v15
	v_cndmask_b32_e32 v14, v14, v16, vcc
	v_mov_b32_e32 v15, 0
.LBB6_45:
	s_or_b64 exec, exec, s[18:19]
.LBB6_46:
	s_or_b64 exec, exec, s[20:21]
	v_or_b32_e32 v58, 0x700, v0
	v_cmp_gt_u32_e64 s[18:19], s64, v58
	v_pk_mov_b32 v[16:17], v[54:55], v[54:55] op_sel:[0,1]
	s_and_saveexec_b64 s[22:23], s[18:19]
	s_cbranch_execz .LBB6_52
; %bb.47:
	v_mov_b32_e32 v17, s45
	v_add_co_u32_e32 v18, vcc, s44, v58
	v_addc_co_u32_e32 v19, vcc, 0, v17, vcc
	v_mov_b32_e32 v16, 0
	v_or_b32_e32 v17, s47, v19
	v_cmp_ne_u64_e32 vcc, 0, v[16:17]
                                        ; implicit-def: $vgpr16_vgpr17
	s_and_saveexec_b64 s[20:21], vcc
	s_xor_b64 s[24:25], exec, s[20:21]
	s_cbranch_execz .LBB6_49
; %bb.48:
	v_cvt_f32_u32_e32 v16, s46
	v_cvt_f32_u32_e32 v17, s47
	s_sub_u32 s20, 0, s46
	s_subb_u32 s21, 0, s47
	v_madmk_f32 v16, v17, 0x4f800000, v16
	v_rcp_f32_e32 v16, v16
	v_mul_f32_e32 v16, 0x5f7ffffc, v16
	v_mul_f32_e32 v17, 0x2f800000, v16
	v_trunc_f32_e32 v17, v17
	v_madmk_f32 v16, v17, 0xcf800000, v16
	v_cvt_u32_f32_e32 v17, v17
	v_cvt_u32_f32_e32 v16, v16
	v_mul_lo_u32 v20, s20, v17
	v_mul_hi_u32 v22, s20, v16
	v_mul_lo_u32 v21, s21, v16
	v_add_u32_e32 v20, v22, v20
	v_mul_lo_u32 v23, s20, v16
	v_add_u32_e32 v20, v20, v21
	v_mul_hi_u32 v22, v16, v23
	v_mul_lo_u32 v24, v16, v20
	v_mul_hi_u32 v21, v16, v20
	v_add_co_u32_e32 v22, vcc, v22, v24
	v_addc_co_u32_e32 v21, vcc, 0, v21, vcc
	v_mul_hi_u32 v25, v17, v23
	v_mul_lo_u32 v23, v17, v23
	v_add_co_u32_e32 v22, vcc, v22, v23
	v_mul_hi_u32 v24, v17, v20
	v_addc_co_u32_e32 v21, vcc, v21, v25, vcc
	v_addc_co_u32_e32 v22, vcc, 0, v24, vcc
	v_mul_lo_u32 v20, v17, v20
	v_add_co_u32_e32 v20, vcc, v21, v20
	v_addc_co_u32_e32 v21, vcc, 0, v22, vcc
	v_add_co_u32_e32 v16, vcc, v16, v20
	v_addc_co_u32_e32 v17, vcc, v17, v21, vcc
	v_mul_lo_u32 v20, s20, v17
	v_mul_hi_u32 v21, s20, v16
	v_add_u32_e32 v20, v21, v20
	v_mul_lo_u32 v21, s21, v16
	v_add_u32_e32 v20, v20, v21
	v_mul_lo_u32 v22, s20, v16
	v_mul_hi_u32 v23, v17, v22
	v_mul_lo_u32 v24, v17, v22
	v_mul_lo_u32 v26, v16, v20
	v_mul_hi_u32 v22, v16, v22
	v_mul_hi_u32 v25, v16, v20
	v_add_co_u32_e32 v22, vcc, v22, v26
	v_addc_co_u32_e32 v25, vcc, 0, v25, vcc
	v_add_co_u32_e32 v22, vcc, v22, v24
	v_mul_hi_u32 v21, v17, v20
	v_addc_co_u32_e32 v22, vcc, v25, v23, vcc
	v_addc_co_u32_e32 v21, vcc, 0, v21, vcc
	v_mul_lo_u32 v20, v17, v20
	v_add_co_u32_e32 v20, vcc, v22, v20
	v_addc_co_u32_e32 v21, vcc, 0, v21, vcc
	v_add_co_u32_e32 v20, vcc, v16, v20
	v_addc_co_u32_e32 v21, vcc, v17, v21, vcc
	v_mad_u64_u32 v[16:17], s[20:21], v18, v21, 0
	v_mul_hi_u32 v22, v18, v20
	v_add_co_u32_e32 v22, vcc, v22, v16
	v_addc_co_u32_e32 v23, vcc, 0, v17, vcc
	v_mad_u64_u32 v[16:17], s[20:21], v19, v21, 0
	v_mad_u64_u32 v[20:21], s[20:21], v19, v20, 0
	v_add_co_u32_e32 v20, vcc, v22, v20
	v_addc_co_u32_e32 v20, vcc, v23, v21, vcc
	v_addc_co_u32_e32 v17, vcc, 0, v17, vcc
	v_add_co_u32_e32 v20, vcc, v20, v16
	v_addc_co_u32_e32 v21, vcc, 0, v17, vcc
	v_mul_lo_u32 v22, s47, v20
	v_mul_lo_u32 v23, s46, v21
	v_mad_u64_u32 v[16:17], s[20:21], s46, v20, 0
	v_add3_u32 v17, v17, v23, v22
	v_sub_u32_e32 v22, v19, v17
	v_mov_b32_e32 v23, s47
	v_sub_co_u32_e32 v16, vcc, v18, v16
	v_subb_co_u32_e64 v18, s[20:21], v22, v23, vcc
	v_subrev_co_u32_e64 v22, s[20:21], s46, v16
	v_subbrev_co_u32_e64 v18, s[20:21], 0, v18, s[20:21]
	v_cmp_le_u32_e64 s[20:21], s47, v18
	v_cndmask_b32_e64 v23, 0, -1, s[20:21]
	v_cmp_le_u32_e64 s[20:21], s46, v22
	v_cndmask_b32_e64 v22, 0, -1, s[20:21]
	v_cmp_eq_u32_e64 s[20:21], s47, v18
	v_cndmask_b32_e64 v18, v23, v22, s[20:21]
	v_add_co_u32_e64 v22, s[20:21], 2, v20
	v_subb_co_u32_e32 v17, vcc, v19, v17, vcc
	v_addc_co_u32_e64 v23, s[20:21], 0, v21, s[20:21]
	v_cmp_le_u32_e32 vcc, s47, v17
	v_add_co_u32_e64 v24, s[20:21], 1, v20
	v_cndmask_b32_e64 v19, 0, -1, vcc
	v_cmp_le_u32_e32 vcc, s46, v16
	v_addc_co_u32_e64 v25, s[20:21], 0, v21, s[20:21]
	v_cndmask_b32_e64 v16, 0, -1, vcc
	v_cmp_eq_u32_e32 vcc, s47, v17
	v_cmp_ne_u32_e64 s[20:21], 0, v18
	v_cndmask_b32_e32 v16, v19, v16, vcc
	v_cndmask_b32_e64 v18, v25, v23, s[20:21]
	v_cmp_ne_u32_e32 vcc, 0, v16
	v_cndmask_b32_e64 v16, v24, v22, s[20:21]
	v_cndmask_b32_e32 v17, v21, v18, vcc
	v_cndmask_b32_e32 v16, v20, v16, vcc
                                        ; implicit-def: $vgpr18
.LBB6_49:
	s_andn2_saveexec_b64 s[20:21], s[24:25]
	s_cbranch_execz .LBB6_51
; %bb.50:
	v_cvt_f32_u32_e32 v16, s46
	s_sub_i32 s24, 0, s46
	v_rcp_iflag_f32_e32 v16, v16
	v_mul_f32_e32 v16, 0x4f7ffffe, v16
	v_cvt_u32_f32_e32 v16, v16
	v_mul_lo_u32 v17, s24, v16
	v_mul_hi_u32 v17, v16, v17
	v_add_u32_e32 v16, v16, v17
	v_mul_hi_u32 v16, v18, v16
	v_mul_lo_u32 v17, v16, s46
	v_sub_u32_e32 v17, v18, v17
	v_add_u32_e32 v19, 1, v16
	v_subrev_u32_e32 v18, s46, v17
	v_cmp_le_u32_e32 vcc, s46, v17
	v_cndmask_b32_e32 v17, v17, v18, vcc
	v_cndmask_b32_e32 v16, v16, v19, vcc
	v_add_u32_e32 v18, 1, v16
	v_cmp_le_u32_e32 vcc, s46, v17
	v_cndmask_b32_e32 v16, v16, v18, vcc
	v_mov_b32_e32 v17, 0
.LBB6_51:
	s_or_b64 exec, exec, s[20:21]
.LBB6_52:
	s_or_b64 exec, exec, s[22:23]
	v_or_b32_e32 v59, 0x800, v0
	v_cmp_gt_u32_e64 s[20:21], s64, v59
	v_pk_mov_b32 v[18:19], v[54:55], v[54:55] op_sel:[0,1]
	s_and_saveexec_b64 s[24:25], s[20:21]
	s_cbranch_execz .LBB6_58
; %bb.53:
	v_mov_b32_e32 v19, s45
	v_add_co_u32_e32 v20, vcc, s44, v59
	v_addc_co_u32_e32 v21, vcc, 0, v19, vcc
	v_mov_b32_e32 v18, 0
	v_or_b32_e32 v19, s47, v21
	v_cmp_ne_u64_e32 vcc, 0, v[18:19]
                                        ; implicit-def: $vgpr18_vgpr19
	s_and_saveexec_b64 s[22:23], vcc
	s_xor_b64 s[26:27], exec, s[22:23]
	s_cbranch_execz .LBB6_55
; %bb.54:
	v_cvt_f32_u32_e32 v18, s46
	v_cvt_f32_u32_e32 v19, s47
	s_sub_u32 s22, 0, s46
	s_subb_u32 s23, 0, s47
	v_madmk_f32 v18, v19, 0x4f800000, v18
	v_rcp_f32_e32 v18, v18
	v_mul_f32_e32 v18, 0x5f7ffffc, v18
	v_mul_f32_e32 v19, 0x2f800000, v18
	v_trunc_f32_e32 v19, v19
	v_madmk_f32 v18, v19, 0xcf800000, v18
	v_cvt_u32_f32_e32 v19, v19
	v_cvt_u32_f32_e32 v18, v18
	v_mul_lo_u32 v22, s22, v19
	v_mul_hi_u32 v24, s22, v18
	v_mul_lo_u32 v23, s23, v18
	v_add_u32_e32 v22, v24, v22
	v_mul_lo_u32 v25, s22, v18
	v_add_u32_e32 v22, v22, v23
	v_mul_hi_u32 v24, v18, v25
	v_mul_lo_u32 v26, v18, v22
	v_mul_hi_u32 v23, v18, v22
	v_add_co_u32_e32 v24, vcc, v24, v26
	v_addc_co_u32_e32 v23, vcc, 0, v23, vcc
	v_mul_hi_u32 v27, v19, v25
	v_mul_lo_u32 v25, v19, v25
	v_add_co_u32_e32 v24, vcc, v24, v25
	v_mul_hi_u32 v26, v19, v22
	v_addc_co_u32_e32 v23, vcc, v23, v27, vcc
	v_addc_co_u32_e32 v24, vcc, 0, v26, vcc
	v_mul_lo_u32 v22, v19, v22
	v_add_co_u32_e32 v22, vcc, v23, v22
	v_addc_co_u32_e32 v23, vcc, 0, v24, vcc
	v_add_co_u32_e32 v18, vcc, v18, v22
	v_addc_co_u32_e32 v19, vcc, v19, v23, vcc
	v_mul_lo_u32 v22, s22, v19
	v_mul_hi_u32 v23, s22, v18
	v_add_u32_e32 v22, v23, v22
	v_mul_lo_u32 v23, s23, v18
	v_add_u32_e32 v22, v22, v23
	v_mul_lo_u32 v24, s22, v18
	v_mul_hi_u32 v25, v19, v24
	v_mul_lo_u32 v26, v19, v24
	v_mul_lo_u32 v28, v18, v22
	v_mul_hi_u32 v24, v18, v24
	v_mul_hi_u32 v27, v18, v22
	v_add_co_u32_e32 v24, vcc, v24, v28
	v_addc_co_u32_e32 v27, vcc, 0, v27, vcc
	v_add_co_u32_e32 v24, vcc, v24, v26
	v_mul_hi_u32 v23, v19, v22
	v_addc_co_u32_e32 v24, vcc, v27, v25, vcc
	v_addc_co_u32_e32 v23, vcc, 0, v23, vcc
	v_mul_lo_u32 v22, v19, v22
	v_add_co_u32_e32 v22, vcc, v24, v22
	v_addc_co_u32_e32 v23, vcc, 0, v23, vcc
	v_add_co_u32_e32 v22, vcc, v18, v22
	v_addc_co_u32_e32 v23, vcc, v19, v23, vcc
	v_mad_u64_u32 v[18:19], s[22:23], v20, v23, 0
	v_mul_hi_u32 v24, v20, v22
	v_add_co_u32_e32 v24, vcc, v24, v18
	v_addc_co_u32_e32 v25, vcc, 0, v19, vcc
	v_mad_u64_u32 v[18:19], s[22:23], v21, v23, 0
	v_mad_u64_u32 v[22:23], s[22:23], v21, v22, 0
	v_add_co_u32_e32 v22, vcc, v24, v22
	v_addc_co_u32_e32 v22, vcc, v25, v23, vcc
	v_addc_co_u32_e32 v19, vcc, 0, v19, vcc
	v_add_co_u32_e32 v22, vcc, v22, v18
	v_addc_co_u32_e32 v23, vcc, 0, v19, vcc
	v_mul_lo_u32 v24, s47, v22
	v_mul_lo_u32 v25, s46, v23
	v_mad_u64_u32 v[18:19], s[22:23], s46, v22, 0
	v_add3_u32 v19, v19, v25, v24
	v_sub_u32_e32 v24, v21, v19
	v_mov_b32_e32 v25, s47
	v_sub_co_u32_e32 v18, vcc, v20, v18
	v_subb_co_u32_e64 v20, s[22:23], v24, v25, vcc
	v_subrev_co_u32_e64 v24, s[22:23], s46, v18
	v_subbrev_co_u32_e64 v20, s[22:23], 0, v20, s[22:23]
	v_cmp_le_u32_e64 s[22:23], s47, v20
	v_cndmask_b32_e64 v25, 0, -1, s[22:23]
	v_cmp_le_u32_e64 s[22:23], s46, v24
	v_cndmask_b32_e64 v24, 0, -1, s[22:23]
	v_cmp_eq_u32_e64 s[22:23], s47, v20
	v_cndmask_b32_e64 v20, v25, v24, s[22:23]
	v_add_co_u32_e64 v24, s[22:23], 2, v22
	v_subb_co_u32_e32 v19, vcc, v21, v19, vcc
	v_addc_co_u32_e64 v25, s[22:23], 0, v23, s[22:23]
	v_cmp_le_u32_e32 vcc, s47, v19
	v_add_co_u32_e64 v26, s[22:23], 1, v22
	v_cndmask_b32_e64 v21, 0, -1, vcc
	v_cmp_le_u32_e32 vcc, s46, v18
	v_addc_co_u32_e64 v27, s[22:23], 0, v23, s[22:23]
	v_cndmask_b32_e64 v18, 0, -1, vcc
	v_cmp_eq_u32_e32 vcc, s47, v19
	v_cmp_ne_u32_e64 s[22:23], 0, v20
	v_cndmask_b32_e32 v18, v21, v18, vcc
	v_cndmask_b32_e64 v20, v27, v25, s[22:23]
	v_cmp_ne_u32_e32 vcc, 0, v18
	v_cndmask_b32_e64 v18, v26, v24, s[22:23]
	v_cndmask_b32_e32 v19, v23, v20, vcc
	v_cndmask_b32_e32 v18, v22, v18, vcc
                                        ; implicit-def: $vgpr20
.LBB6_55:
	s_andn2_saveexec_b64 s[22:23], s[26:27]
	s_cbranch_execz .LBB6_57
; %bb.56:
	v_cvt_f32_u32_e32 v18, s46
	s_sub_i32 s26, 0, s46
	v_rcp_iflag_f32_e32 v18, v18
	v_mul_f32_e32 v18, 0x4f7ffffe, v18
	v_cvt_u32_f32_e32 v18, v18
	v_mul_lo_u32 v19, s26, v18
	v_mul_hi_u32 v19, v18, v19
	v_add_u32_e32 v18, v18, v19
	v_mul_hi_u32 v18, v20, v18
	v_mul_lo_u32 v19, v18, s46
	v_sub_u32_e32 v19, v20, v19
	v_add_u32_e32 v21, 1, v18
	v_subrev_u32_e32 v20, s46, v19
	v_cmp_le_u32_e32 vcc, s46, v19
	v_cndmask_b32_e32 v19, v19, v20, vcc
	v_cndmask_b32_e32 v18, v18, v21, vcc
	v_add_u32_e32 v20, 1, v18
	v_cmp_le_u32_e32 vcc, s46, v19
	v_cndmask_b32_e32 v18, v18, v20, vcc
	v_mov_b32_e32 v19, 0
.LBB6_57:
	s_or_b64 exec, exec, s[22:23]
.LBB6_58:
	s_or_b64 exec, exec, s[24:25]
	v_or_b32_e32 v60, 0x900, v0
	v_cmp_gt_u32_e64 s[22:23], s64, v60
	v_pk_mov_b32 v[20:21], v[54:55], v[54:55] op_sel:[0,1]
	s_and_saveexec_b64 s[26:27], s[22:23]
	s_cbranch_execz .LBB6_64
; %bb.59:
	v_mov_b32_e32 v21, s45
	v_add_co_u32_e32 v22, vcc, s44, v60
	v_addc_co_u32_e32 v23, vcc, 0, v21, vcc
	v_mov_b32_e32 v20, 0
	v_or_b32_e32 v21, s47, v23
	v_cmp_ne_u64_e32 vcc, 0, v[20:21]
                                        ; implicit-def: $vgpr20_vgpr21
	s_and_saveexec_b64 s[24:25], vcc
	s_xor_b64 s[28:29], exec, s[24:25]
	s_cbranch_execz .LBB6_61
; %bb.60:
	v_cvt_f32_u32_e32 v20, s46
	v_cvt_f32_u32_e32 v21, s47
	s_sub_u32 s24, 0, s46
	s_subb_u32 s25, 0, s47
	v_madmk_f32 v20, v21, 0x4f800000, v20
	v_rcp_f32_e32 v20, v20
	v_mul_f32_e32 v20, 0x5f7ffffc, v20
	v_mul_f32_e32 v21, 0x2f800000, v20
	v_trunc_f32_e32 v21, v21
	v_madmk_f32 v20, v21, 0xcf800000, v20
	v_cvt_u32_f32_e32 v21, v21
	v_cvt_u32_f32_e32 v20, v20
	v_mul_lo_u32 v24, s24, v21
	v_mul_hi_u32 v26, s24, v20
	v_mul_lo_u32 v25, s25, v20
	v_add_u32_e32 v24, v26, v24
	v_mul_lo_u32 v27, s24, v20
	v_add_u32_e32 v24, v24, v25
	v_mul_hi_u32 v26, v20, v27
	v_mul_lo_u32 v28, v20, v24
	v_mul_hi_u32 v25, v20, v24
	v_add_co_u32_e32 v26, vcc, v26, v28
	v_addc_co_u32_e32 v25, vcc, 0, v25, vcc
	v_mul_hi_u32 v29, v21, v27
	v_mul_lo_u32 v27, v21, v27
	v_add_co_u32_e32 v26, vcc, v26, v27
	v_mul_hi_u32 v28, v21, v24
	v_addc_co_u32_e32 v25, vcc, v25, v29, vcc
	v_addc_co_u32_e32 v26, vcc, 0, v28, vcc
	v_mul_lo_u32 v24, v21, v24
	v_add_co_u32_e32 v24, vcc, v25, v24
	v_addc_co_u32_e32 v25, vcc, 0, v26, vcc
	v_add_co_u32_e32 v20, vcc, v20, v24
	v_addc_co_u32_e32 v21, vcc, v21, v25, vcc
	v_mul_lo_u32 v24, s24, v21
	v_mul_hi_u32 v25, s24, v20
	v_add_u32_e32 v24, v25, v24
	v_mul_lo_u32 v25, s25, v20
	v_add_u32_e32 v24, v24, v25
	v_mul_lo_u32 v26, s24, v20
	v_mul_hi_u32 v27, v21, v26
	v_mul_lo_u32 v28, v21, v26
	v_mul_lo_u32 v30, v20, v24
	v_mul_hi_u32 v26, v20, v26
	v_mul_hi_u32 v29, v20, v24
	v_add_co_u32_e32 v26, vcc, v26, v30
	v_addc_co_u32_e32 v29, vcc, 0, v29, vcc
	v_add_co_u32_e32 v26, vcc, v26, v28
	v_mul_hi_u32 v25, v21, v24
	v_addc_co_u32_e32 v26, vcc, v29, v27, vcc
	v_addc_co_u32_e32 v25, vcc, 0, v25, vcc
	v_mul_lo_u32 v24, v21, v24
	v_add_co_u32_e32 v24, vcc, v26, v24
	v_addc_co_u32_e32 v25, vcc, 0, v25, vcc
	v_add_co_u32_e32 v24, vcc, v20, v24
	v_addc_co_u32_e32 v25, vcc, v21, v25, vcc
	v_mad_u64_u32 v[20:21], s[24:25], v22, v25, 0
	v_mul_hi_u32 v26, v22, v24
	v_add_co_u32_e32 v26, vcc, v26, v20
	v_addc_co_u32_e32 v27, vcc, 0, v21, vcc
	v_mad_u64_u32 v[20:21], s[24:25], v23, v25, 0
	v_mad_u64_u32 v[24:25], s[24:25], v23, v24, 0
	v_add_co_u32_e32 v24, vcc, v26, v24
	v_addc_co_u32_e32 v24, vcc, v27, v25, vcc
	v_addc_co_u32_e32 v21, vcc, 0, v21, vcc
	v_add_co_u32_e32 v24, vcc, v24, v20
	v_addc_co_u32_e32 v25, vcc, 0, v21, vcc
	v_mul_lo_u32 v26, s47, v24
	v_mul_lo_u32 v27, s46, v25
	v_mad_u64_u32 v[20:21], s[24:25], s46, v24, 0
	v_add3_u32 v21, v21, v27, v26
	v_sub_u32_e32 v26, v23, v21
	v_mov_b32_e32 v27, s47
	v_sub_co_u32_e32 v20, vcc, v22, v20
	v_subb_co_u32_e64 v22, s[24:25], v26, v27, vcc
	v_subrev_co_u32_e64 v26, s[24:25], s46, v20
	v_subbrev_co_u32_e64 v22, s[24:25], 0, v22, s[24:25]
	v_cmp_le_u32_e64 s[24:25], s47, v22
	v_cndmask_b32_e64 v27, 0, -1, s[24:25]
	v_cmp_le_u32_e64 s[24:25], s46, v26
	v_cndmask_b32_e64 v26, 0, -1, s[24:25]
	v_cmp_eq_u32_e64 s[24:25], s47, v22
	v_cndmask_b32_e64 v22, v27, v26, s[24:25]
	v_add_co_u32_e64 v26, s[24:25], 2, v24
	v_subb_co_u32_e32 v21, vcc, v23, v21, vcc
	v_addc_co_u32_e64 v27, s[24:25], 0, v25, s[24:25]
	v_cmp_le_u32_e32 vcc, s47, v21
	v_add_co_u32_e64 v28, s[24:25], 1, v24
	v_cndmask_b32_e64 v23, 0, -1, vcc
	v_cmp_le_u32_e32 vcc, s46, v20
	v_addc_co_u32_e64 v29, s[24:25], 0, v25, s[24:25]
	v_cndmask_b32_e64 v20, 0, -1, vcc
	v_cmp_eq_u32_e32 vcc, s47, v21
	v_cmp_ne_u32_e64 s[24:25], 0, v22
	v_cndmask_b32_e32 v20, v23, v20, vcc
	v_cndmask_b32_e64 v22, v29, v27, s[24:25]
	v_cmp_ne_u32_e32 vcc, 0, v20
	v_cndmask_b32_e64 v20, v28, v26, s[24:25]
	v_cndmask_b32_e32 v21, v25, v22, vcc
	v_cndmask_b32_e32 v20, v24, v20, vcc
                                        ; implicit-def: $vgpr22
.LBB6_61:
	s_andn2_saveexec_b64 s[24:25], s[28:29]
	s_cbranch_execz .LBB6_63
; %bb.62:
	v_cvt_f32_u32_e32 v20, s46
	s_sub_i32 s28, 0, s46
	v_rcp_iflag_f32_e32 v20, v20
	v_mul_f32_e32 v20, 0x4f7ffffe, v20
	v_cvt_u32_f32_e32 v20, v20
	v_mul_lo_u32 v21, s28, v20
	v_mul_hi_u32 v21, v20, v21
	v_add_u32_e32 v20, v20, v21
	v_mul_hi_u32 v20, v22, v20
	v_mul_lo_u32 v21, v20, s46
	v_sub_u32_e32 v21, v22, v21
	v_add_u32_e32 v23, 1, v20
	v_subrev_u32_e32 v22, s46, v21
	v_cmp_le_u32_e32 vcc, s46, v21
	v_cndmask_b32_e32 v21, v21, v22, vcc
	v_cndmask_b32_e32 v20, v20, v23, vcc
	v_add_u32_e32 v22, 1, v20
	v_cmp_le_u32_e32 vcc, s46, v21
	v_cndmask_b32_e32 v20, v20, v22, vcc
	v_mov_b32_e32 v21, 0
.LBB6_63:
	s_or_b64 exec, exec, s[24:25]
.LBB6_64:
	s_or_b64 exec, exec, s[26:27]
	v_or_b32_e32 v61, 0xa00, v0
	v_cmp_gt_u32_e64 s[24:25], s64, v61
	v_pk_mov_b32 v[22:23], v[54:55], v[54:55] op_sel:[0,1]
	s_and_saveexec_b64 s[28:29], s[24:25]
	s_cbranch_execz .LBB6_70
; %bb.65:
	v_mov_b32_e32 v23, s45
	v_add_co_u32_e32 v24, vcc, s44, v61
	v_addc_co_u32_e32 v25, vcc, 0, v23, vcc
	v_mov_b32_e32 v22, 0
	v_or_b32_e32 v23, s47, v25
	v_cmp_ne_u64_e32 vcc, 0, v[22:23]
                                        ; implicit-def: $vgpr22_vgpr23
	s_and_saveexec_b64 s[26:27], vcc
	s_xor_b64 s[30:31], exec, s[26:27]
	s_cbranch_execz .LBB6_67
; %bb.66:
	v_cvt_f32_u32_e32 v22, s46
	v_cvt_f32_u32_e32 v23, s47
	s_sub_u32 s26, 0, s46
	s_subb_u32 s27, 0, s47
	v_madmk_f32 v22, v23, 0x4f800000, v22
	v_rcp_f32_e32 v22, v22
	v_mul_f32_e32 v22, 0x5f7ffffc, v22
	v_mul_f32_e32 v23, 0x2f800000, v22
	v_trunc_f32_e32 v23, v23
	v_madmk_f32 v22, v23, 0xcf800000, v22
	v_cvt_u32_f32_e32 v23, v23
	v_cvt_u32_f32_e32 v22, v22
	v_mul_lo_u32 v26, s26, v23
	v_mul_hi_u32 v28, s26, v22
	v_mul_lo_u32 v27, s27, v22
	v_add_u32_e32 v26, v28, v26
	v_mul_lo_u32 v29, s26, v22
	v_add_u32_e32 v26, v26, v27
	v_mul_hi_u32 v28, v22, v29
	v_mul_lo_u32 v30, v22, v26
	v_mul_hi_u32 v27, v22, v26
	v_add_co_u32_e32 v28, vcc, v28, v30
	v_addc_co_u32_e32 v27, vcc, 0, v27, vcc
	v_mul_hi_u32 v31, v23, v29
	v_mul_lo_u32 v29, v23, v29
	v_add_co_u32_e32 v28, vcc, v28, v29
	v_mul_hi_u32 v30, v23, v26
	v_addc_co_u32_e32 v27, vcc, v27, v31, vcc
	v_addc_co_u32_e32 v28, vcc, 0, v30, vcc
	v_mul_lo_u32 v26, v23, v26
	v_add_co_u32_e32 v26, vcc, v27, v26
	v_addc_co_u32_e32 v27, vcc, 0, v28, vcc
	v_add_co_u32_e32 v22, vcc, v22, v26
	v_addc_co_u32_e32 v23, vcc, v23, v27, vcc
	v_mul_lo_u32 v26, s26, v23
	v_mul_hi_u32 v27, s26, v22
	v_add_u32_e32 v26, v27, v26
	v_mul_lo_u32 v27, s27, v22
	v_add_u32_e32 v26, v26, v27
	v_mul_lo_u32 v28, s26, v22
	v_mul_hi_u32 v29, v23, v28
	v_mul_lo_u32 v30, v23, v28
	v_mul_lo_u32 v32, v22, v26
	v_mul_hi_u32 v28, v22, v28
	v_mul_hi_u32 v31, v22, v26
	v_add_co_u32_e32 v28, vcc, v28, v32
	v_addc_co_u32_e32 v31, vcc, 0, v31, vcc
	v_add_co_u32_e32 v28, vcc, v28, v30
	v_mul_hi_u32 v27, v23, v26
	v_addc_co_u32_e32 v28, vcc, v31, v29, vcc
	v_addc_co_u32_e32 v27, vcc, 0, v27, vcc
	v_mul_lo_u32 v26, v23, v26
	v_add_co_u32_e32 v26, vcc, v28, v26
	v_addc_co_u32_e32 v27, vcc, 0, v27, vcc
	v_add_co_u32_e32 v26, vcc, v22, v26
	v_addc_co_u32_e32 v27, vcc, v23, v27, vcc
	v_mad_u64_u32 v[22:23], s[26:27], v24, v27, 0
	v_mul_hi_u32 v28, v24, v26
	v_add_co_u32_e32 v28, vcc, v28, v22
	v_addc_co_u32_e32 v29, vcc, 0, v23, vcc
	v_mad_u64_u32 v[22:23], s[26:27], v25, v27, 0
	v_mad_u64_u32 v[26:27], s[26:27], v25, v26, 0
	v_add_co_u32_e32 v26, vcc, v28, v26
	v_addc_co_u32_e32 v26, vcc, v29, v27, vcc
	v_addc_co_u32_e32 v23, vcc, 0, v23, vcc
	v_add_co_u32_e32 v26, vcc, v26, v22
	v_addc_co_u32_e32 v27, vcc, 0, v23, vcc
	v_mul_lo_u32 v28, s47, v26
	v_mul_lo_u32 v29, s46, v27
	v_mad_u64_u32 v[22:23], s[26:27], s46, v26, 0
	v_add3_u32 v23, v23, v29, v28
	v_sub_u32_e32 v28, v25, v23
	v_mov_b32_e32 v29, s47
	v_sub_co_u32_e32 v22, vcc, v24, v22
	v_subb_co_u32_e64 v24, s[26:27], v28, v29, vcc
	v_subrev_co_u32_e64 v28, s[26:27], s46, v22
	v_subbrev_co_u32_e64 v24, s[26:27], 0, v24, s[26:27]
	v_cmp_le_u32_e64 s[26:27], s47, v24
	v_cndmask_b32_e64 v29, 0, -1, s[26:27]
	v_cmp_le_u32_e64 s[26:27], s46, v28
	v_cndmask_b32_e64 v28, 0, -1, s[26:27]
	v_cmp_eq_u32_e64 s[26:27], s47, v24
	v_cndmask_b32_e64 v24, v29, v28, s[26:27]
	v_add_co_u32_e64 v28, s[26:27], 2, v26
	v_subb_co_u32_e32 v23, vcc, v25, v23, vcc
	v_addc_co_u32_e64 v29, s[26:27], 0, v27, s[26:27]
	v_cmp_le_u32_e32 vcc, s47, v23
	v_add_co_u32_e64 v30, s[26:27], 1, v26
	v_cndmask_b32_e64 v25, 0, -1, vcc
	v_cmp_le_u32_e32 vcc, s46, v22
	v_addc_co_u32_e64 v31, s[26:27], 0, v27, s[26:27]
	v_cndmask_b32_e64 v22, 0, -1, vcc
	v_cmp_eq_u32_e32 vcc, s47, v23
	v_cmp_ne_u32_e64 s[26:27], 0, v24
	v_cndmask_b32_e32 v22, v25, v22, vcc
	v_cndmask_b32_e64 v24, v31, v29, s[26:27]
	v_cmp_ne_u32_e32 vcc, 0, v22
	v_cndmask_b32_e64 v22, v30, v28, s[26:27]
	v_cndmask_b32_e32 v23, v27, v24, vcc
	v_cndmask_b32_e32 v22, v26, v22, vcc
                                        ; implicit-def: $vgpr24
.LBB6_67:
	s_andn2_saveexec_b64 s[26:27], s[30:31]
	s_cbranch_execz .LBB6_69
; %bb.68:
	v_cvt_f32_u32_e32 v22, s46
	s_sub_i32 s30, 0, s46
	v_rcp_iflag_f32_e32 v22, v22
	v_mul_f32_e32 v22, 0x4f7ffffe, v22
	v_cvt_u32_f32_e32 v22, v22
	v_mul_lo_u32 v23, s30, v22
	v_mul_hi_u32 v23, v22, v23
	v_add_u32_e32 v22, v22, v23
	v_mul_hi_u32 v22, v24, v22
	v_mul_lo_u32 v23, v22, s46
	v_sub_u32_e32 v23, v24, v23
	v_add_u32_e32 v25, 1, v22
	v_subrev_u32_e32 v24, s46, v23
	v_cmp_le_u32_e32 vcc, s46, v23
	v_cndmask_b32_e32 v23, v23, v24, vcc
	v_cndmask_b32_e32 v22, v22, v25, vcc
	v_add_u32_e32 v24, 1, v22
	v_cmp_le_u32_e32 vcc, s46, v23
	v_cndmask_b32_e32 v22, v22, v24, vcc
	v_mov_b32_e32 v23, 0
.LBB6_69:
	s_or_b64 exec, exec, s[26:27]
.LBB6_70:
	s_or_b64 exec, exec, s[28:29]
	v_or_b32_e32 v62, 0xb00, v0
	v_cmp_gt_u32_e64 s[26:27], s64, v62
	v_pk_mov_b32 v[24:25], v[54:55], v[54:55] op_sel:[0,1]
	s_and_saveexec_b64 s[30:31], s[26:27]
	s_cbranch_execz .LBB6_76
; %bb.71:
	v_mov_b32_e32 v25, s45
	v_add_co_u32_e32 v26, vcc, s44, v62
	v_addc_co_u32_e32 v27, vcc, 0, v25, vcc
	v_mov_b32_e32 v24, 0
	v_or_b32_e32 v25, s47, v27
	v_cmp_ne_u64_e32 vcc, 0, v[24:25]
                                        ; implicit-def: $vgpr24_vgpr25
	s_and_saveexec_b64 s[28:29], vcc
	s_xor_b64 s[36:37], exec, s[28:29]
	s_cbranch_execz .LBB6_73
; %bb.72:
	v_cvt_f32_u32_e32 v24, s46
	v_cvt_f32_u32_e32 v25, s47
	s_sub_u32 s28, 0, s46
	s_subb_u32 s29, 0, s47
	v_madmk_f32 v24, v25, 0x4f800000, v24
	v_rcp_f32_e32 v24, v24
	v_mul_f32_e32 v24, 0x5f7ffffc, v24
	v_mul_f32_e32 v25, 0x2f800000, v24
	v_trunc_f32_e32 v25, v25
	v_madmk_f32 v24, v25, 0xcf800000, v24
	v_cvt_u32_f32_e32 v25, v25
	v_cvt_u32_f32_e32 v24, v24
	v_mul_lo_u32 v28, s28, v25
	v_mul_hi_u32 v30, s28, v24
	v_mul_lo_u32 v29, s29, v24
	v_add_u32_e32 v28, v30, v28
	v_mul_lo_u32 v31, s28, v24
	v_add_u32_e32 v28, v28, v29
	v_mul_hi_u32 v30, v24, v31
	v_mul_lo_u32 v32, v24, v28
	v_mul_hi_u32 v29, v24, v28
	v_add_co_u32_e32 v30, vcc, v30, v32
	v_addc_co_u32_e32 v29, vcc, 0, v29, vcc
	v_mul_hi_u32 v33, v25, v31
	v_mul_lo_u32 v31, v25, v31
	v_add_co_u32_e32 v30, vcc, v30, v31
	v_mul_hi_u32 v32, v25, v28
	v_addc_co_u32_e32 v29, vcc, v29, v33, vcc
	v_addc_co_u32_e32 v30, vcc, 0, v32, vcc
	v_mul_lo_u32 v28, v25, v28
	v_add_co_u32_e32 v28, vcc, v29, v28
	v_addc_co_u32_e32 v29, vcc, 0, v30, vcc
	v_add_co_u32_e32 v24, vcc, v24, v28
	v_addc_co_u32_e32 v25, vcc, v25, v29, vcc
	v_mul_lo_u32 v28, s28, v25
	v_mul_hi_u32 v29, s28, v24
	v_add_u32_e32 v28, v29, v28
	v_mul_lo_u32 v29, s29, v24
	v_add_u32_e32 v28, v28, v29
	v_mul_lo_u32 v30, s28, v24
	v_mul_hi_u32 v31, v25, v30
	v_mul_lo_u32 v32, v25, v30
	v_mul_lo_u32 v34, v24, v28
	v_mul_hi_u32 v30, v24, v30
	v_mul_hi_u32 v33, v24, v28
	v_add_co_u32_e32 v30, vcc, v30, v34
	v_addc_co_u32_e32 v33, vcc, 0, v33, vcc
	v_add_co_u32_e32 v30, vcc, v30, v32
	v_mul_hi_u32 v29, v25, v28
	v_addc_co_u32_e32 v30, vcc, v33, v31, vcc
	v_addc_co_u32_e32 v29, vcc, 0, v29, vcc
	v_mul_lo_u32 v28, v25, v28
	v_add_co_u32_e32 v28, vcc, v30, v28
	v_addc_co_u32_e32 v29, vcc, 0, v29, vcc
	v_add_co_u32_e32 v28, vcc, v24, v28
	v_addc_co_u32_e32 v29, vcc, v25, v29, vcc
	v_mad_u64_u32 v[24:25], s[28:29], v26, v29, 0
	v_mul_hi_u32 v30, v26, v28
	v_add_co_u32_e32 v30, vcc, v30, v24
	v_addc_co_u32_e32 v31, vcc, 0, v25, vcc
	v_mad_u64_u32 v[24:25], s[28:29], v27, v29, 0
	v_mad_u64_u32 v[28:29], s[28:29], v27, v28, 0
	v_add_co_u32_e32 v28, vcc, v30, v28
	v_addc_co_u32_e32 v28, vcc, v31, v29, vcc
	v_addc_co_u32_e32 v25, vcc, 0, v25, vcc
	v_add_co_u32_e32 v28, vcc, v28, v24
	v_addc_co_u32_e32 v29, vcc, 0, v25, vcc
	v_mul_lo_u32 v30, s47, v28
	v_mul_lo_u32 v31, s46, v29
	v_mad_u64_u32 v[24:25], s[28:29], s46, v28, 0
	v_add3_u32 v25, v25, v31, v30
	v_sub_u32_e32 v30, v27, v25
	v_mov_b32_e32 v31, s47
	v_sub_co_u32_e32 v24, vcc, v26, v24
	v_subb_co_u32_e64 v26, s[28:29], v30, v31, vcc
	v_subrev_co_u32_e64 v30, s[28:29], s46, v24
	v_subbrev_co_u32_e64 v26, s[28:29], 0, v26, s[28:29]
	v_cmp_le_u32_e64 s[28:29], s47, v26
	v_cndmask_b32_e64 v31, 0, -1, s[28:29]
	v_cmp_le_u32_e64 s[28:29], s46, v30
	v_cndmask_b32_e64 v30, 0, -1, s[28:29]
	v_cmp_eq_u32_e64 s[28:29], s47, v26
	v_cndmask_b32_e64 v26, v31, v30, s[28:29]
	v_add_co_u32_e64 v30, s[28:29], 2, v28
	v_subb_co_u32_e32 v25, vcc, v27, v25, vcc
	v_addc_co_u32_e64 v31, s[28:29], 0, v29, s[28:29]
	v_cmp_le_u32_e32 vcc, s47, v25
	v_add_co_u32_e64 v32, s[28:29], 1, v28
	v_cndmask_b32_e64 v27, 0, -1, vcc
	v_cmp_le_u32_e32 vcc, s46, v24
	v_addc_co_u32_e64 v33, s[28:29], 0, v29, s[28:29]
	v_cndmask_b32_e64 v24, 0, -1, vcc
	v_cmp_eq_u32_e32 vcc, s47, v25
	v_cmp_ne_u32_e64 s[28:29], 0, v26
	v_cndmask_b32_e32 v24, v27, v24, vcc
	v_cndmask_b32_e64 v26, v33, v31, s[28:29]
	v_cmp_ne_u32_e32 vcc, 0, v24
	v_cndmask_b32_e64 v24, v32, v30, s[28:29]
	v_cndmask_b32_e32 v25, v29, v26, vcc
	v_cndmask_b32_e32 v24, v28, v24, vcc
                                        ; implicit-def: $vgpr26
.LBB6_73:
	s_andn2_saveexec_b64 s[28:29], s[36:37]
	s_cbranch_execz .LBB6_75
; %bb.74:
	v_cvt_f32_u32_e32 v24, s46
	s_sub_i32 s36, 0, s46
	v_rcp_iflag_f32_e32 v24, v24
	v_mul_f32_e32 v24, 0x4f7ffffe, v24
	v_cvt_u32_f32_e32 v24, v24
	v_mul_lo_u32 v25, s36, v24
	v_mul_hi_u32 v25, v24, v25
	v_add_u32_e32 v24, v24, v25
	v_mul_hi_u32 v24, v26, v24
	v_mul_lo_u32 v25, v24, s46
	v_sub_u32_e32 v25, v26, v25
	v_add_u32_e32 v27, 1, v24
	v_subrev_u32_e32 v26, s46, v25
	v_cmp_le_u32_e32 vcc, s46, v25
	v_cndmask_b32_e32 v25, v25, v26, vcc
	v_cndmask_b32_e32 v24, v24, v27, vcc
	v_add_u32_e32 v26, 1, v24
	v_cmp_le_u32_e32 vcc, s46, v25
	v_cndmask_b32_e32 v24, v24, v26, vcc
	v_mov_b32_e32 v25, 0
.LBB6_75:
	s_or_b64 exec, exec, s[28:29]
.LBB6_76:
	s_or_b64 exec, exec, s[30:31]
	v_or_b32_e32 v63, 0xc00, v0
	v_cmp_gt_u32_e64 s[28:29], s64, v63
	v_pk_mov_b32 v[26:27], v[54:55], v[54:55] op_sel:[0,1]
	s_and_saveexec_b64 s[36:37], s[28:29]
	s_cbranch_execz .LBB6_82
; %bb.77:
	v_mov_b32_e32 v27, s45
	v_add_co_u32_e32 v28, vcc, s44, v63
	v_addc_co_u32_e32 v29, vcc, 0, v27, vcc
	v_mov_b32_e32 v26, 0
	v_or_b32_e32 v27, s47, v29
	v_cmp_ne_u64_e32 vcc, 0, v[26:27]
                                        ; implicit-def: $vgpr26_vgpr27
	s_and_saveexec_b64 s[30:31], vcc
	s_xor_b64 s[60:61], exec, s[30:31]
	s_cbranch_execz .LBB6_79
; %bb.78:
	v_cvt_f32_u32_e32 v26, s46
	v_cvt_f32_u32_e32 v27, s47
	s_sub_u32 s30, 0, s46
	s_subb_u32 s31, 0, s47
	v_madmk_f32 v26, v27, 0x4f800000, v26
	v_rcp_f32_e32 v26, v26
	v_mul_f32_e32 v26, 0x5f7ffffc, v26
	v_mul_f32_e32 v27, 0x2f800000, v26
	v_trunc_f32_e32 v27, v27
	v_madmk_f32 v26, v27, 0xcf800000, v26
	v_cvt_u32_f32_e32 v27, v27
	v_cvt_u32_f32_e32 v26, v26
	v_mul_lo_u32 v30, s30, v27
	v_mul_hi_u32 v32, s30, v26
	v_mul_lo_u32 v31, s31, v26
	v_add_u32_e32 v30, v32, v30
	v_mul_lo_u32 v33, s30, v26
	v_add_u32_e32 v30, v30, v31
	v_mul_hi_u32 v32, v26, v33
	v_mul_lo_u32 v34, v26, v30
	v_mul_hi_u32 v31, v26, v30
	v_add_co_u32_e32 v32, vcc, v32, v34
	v_addc_co_u32_e32 v31, vcc, 0, v31, vcc
	v_mul_hi_u32 v35, v27, v33
	v_mul_lo_u32 v33, v27, v33
	v_add_co_u32_e32 v32, vcc, v32, v33
	v_mul_hi_u32 v34, v27, v30
	v_addc_co_u32_e32 v31, vcc, v31, v35, vcc
	v_addc_co_u32_e32 v32, vcc, 0, v34, vcc
	v_mul_lo_u32 v30, v27, v30
	v_add_co_u32_e32 v30, vcc, v31, v30
	v_addc_co_u32_e32 v31, vcc, 0, v32, vcc
	v_add_co_u32_e32 v26, vcc, v26, v30
	v_addc_co_u32_e32 v27, vcc, v27, v31, vcc
	v_mul_lo_u32 v30, s30, v27
	v_mul_hi_u32 v31, s30, v26
	v_add_u32_e32 v30, v31, v30
	v_mul_lo_u32 v31, s31, v26
	v_add_u32_e32 v30, v30, v31
	v_mul_lo_u32 v32, s30, v26
	v_mul_hi_u32 v33, v27, v32
	v_mul_lo_u32 v34, v27, v32
	v_mul_lo_u32 v36, v26, v30
	v_mul_hi_u32 v32, v26, v32
	v_mul_hi_u32 v35, v26, v30
	v_add_co_u32_e32 v32, vcc, v32, v36
	v_addc_co_u32_e32 v35, vcc, 0, v35, vcc
	v_add_co_u32_e32 v32, vcc, v32, v34
	v_mul_hi_u32 v31, v27, v30
	v_addc_co_u32_e32 v32, vcc, v35, v33, vcc
	v_addc_co_u32_e32 v31, vcc, 0, v31, vcc
	v_mul_lo_u32 v30, v27, v30
	v_add_co_u32_e32 v30, vcc, v32, v30
	v_addc_co_u32_e32 v31, vcc, 0, v31, vcc
	v_add_co_u32_e32 v30, vcc, v26, v30
	v_addc_co_u32_e32 v31, vcc, v27, v31, vcc
	v_mad_u64_u32 v[26:27], s[30:31], v28, v31, 0
	v_mul_hi_u32 v32, v28, v30
	v_add_co_u32_e32 v32, vcc, v32, v26
	v_addc_co_u32_e32 v33, vcc, 0, v27, vcc
	v_mad_u64_u32 v[26:27], s[30:31], v29, v31, 0
	v_mad_u64_u32 v[30:31], s[30:31], v29, v30, 0
	v_add_co_u32_e32 v30, vcc, v32, v30
	v_addc_co_u32_e32 v30, vcc, v33, v31, vcc
	v_addc_co_u32_e32 v27, vcc, 0, v27, vcc
	v_add_co_u32_e32 v30, vcc, v30, v26
	v_addc_co_u32_e32 v31, vcc, 0, v27, vcc
	v_mul_lo_u32 v32, s47, v30
	v_mul_lo_u32 v33, s46, v31
	v_mad_u64_u32 v[26:27], s[30:31], s46, v30, 0
	v_add3_u32 v27, v27, v33, v32
	v_sub_u32_e32 v32, v29, v27
	v_mov_b32_e32 v33, s47
	v_sub_co_u32_e32 v26, vcc, v28, v26
	v_subb_co_u32_e64 v28, s[30:31], v32, v33, vcc
	v_subrev_co_u32_e64 v32, s[30:31], s46, v26
	v_subbrev_co_u32_e64 v28, s[30:31], 0, v28, s[30:31]
	v_cmp_le_u32_e64 s[30:31], s47, v28
	v_cndmask_b32_e64 v33, 0, -1, s[30:31]
	v_cmp_le_u32_e64 s[30:31], s46, v32
	v_cndmask_b32_e64 v32, 0, -1, s[30:31]
	v_cmp_eq_u32_e64 s[30:31], s47, v28
	v_cndmask_b32_e64 v28, v33, v32, s[30:31]
	v_add_co_u32_e64 v32, s[30:31], 2, v30
	v_subb_co_u32_e32 v27, vcc, v29, v27, vcc
	v_addc_co_u32_e64 v33, s[30:31], 0, v31, s[30:31]
	v_cmp_le_u32_e32 vcc, s47, v27
	v_add_co_u32_e64 v34, s[30:31], 1, v30
	v_cndmask_b32_e64 v29, 0, -1, vcc
	v_cmp_le_u32_e32 vcc, s46, v26
	v_addc_co_u32_e64 v35, s[30:31], 0, v31, s[30:31]
	v_cndmask_b32_e64 v26, 0, -1, vcc
	v_cmp_eq_u32_e32 vcc, s47, v27
	v_cmp_ne_u32_e64 s[30:31], 0, v28
	v_cndmask_b32_e32 v26, v29, v26, vcc
	v_cndmask_b32_e64 v28, v35, v33, s[30:31]
	v_cmp_ne_u32_e32 vcc, 0, v26
	v_cndmask_b32_e64 v26, v34, v32, s[30:31]
	v_cndmask_b32_e32 v27, v31, v28, vcc
	v_cndmask_b32_e32 v26, v30, v26, vcc
                                        ; implicit-def: $vgpr28
.LBB6_79:
	s_andn2_saveexec_b64 s[30:31], s[60:61]
	s_cbranch_execz .LBB6_81
; %bb.80:
	v_cvt_f32_u32_e32 v26, s46
	s_sub_i32 s60, 0, s46
	v_rcp_iflag_f32_e32 v26, v26
	v_mul_f32_e32 v26, 0x4f7ffffe, v26
	v_cvt_u32_f32_e32 v26, v26
	v_mul_lo_u32 v27, s60, v26
	v_mul_hi_u32 v27, v26, v27
	v_add_u32_e32 v26, v26, v27
	v_mul_hi_u32 v26, v28, v26
	v_mul_lo_u32 v27, v26, s46
	v_sub_u32_e32 v27, v28, v27
	v_add_u32_e32 v29, 1, v26
	v_subrev_u32_e32 v28, s46, v27
	v_cmp_le_u32_e32 vcc, s46, v27
	v_cndmask_b32_e32 v27, v27, v28, vcc
	v_cndmask_b32_e32 v26, v26, v29, vcc
	v_add_u32_e32 v28, 1, v26
	v_cmp_le_u32_e32 vcc, s46, v27
	v_cndmask_b32_e32 v26, v26, v28, vcc
	v_mov_b32_e32 v27, 0
.LBB6_81:
	s_or_b64 exec, exec, s[30:31]
.LBB6_82:
	s_or_b64 exec, exec, s[36:37]
	v_or_b32_e32 v64, 0xd00, v0
	v_cmp_gt_u32_e64 s[30:31], s64, v64
	v_pk_mov_b32 v[28:29], v[54:55], v[54:55] op_sel:[0,1]
	s_and_saveexec_b64 s[60:61], s[30:31]
	s_cbranch_execz .LBB6_88
; %bb.83:
	v_mov_b32_e32 v29, s45
	v_add_co_u32_e32 v30, vcc, s44, v64
	v_addc_co_u32_e32 v31, vcc, 0, v29, vcc
	v_mov_b32_e32 v28, 0
	v_or_b32_e32 v29, s47, v31
	v_cmp_ne_u64_e32 vcc, 0, v[28:29]
                                        ; implicit-def: $vgpr28_vgpr29
	s_and_saveexec_b64 s[36:37], vcc
	s_xor_b64 s[62:63], exec, s[36:37]
	s_cbranch_execz .LBB6_85
; %bb.84:
	v_cvt_f32_u32_e32 v28, s46
	v_cvt_f32_u32_e32 v29, s47
	s_sub_u32 s36, 0, s46
	s_subb_u32 s37, 0, s47
	v_madmk_f32 v28, v29, 0x4f800000, v28
	v_rcp_f32_e32 v28, v28
	v_mul_f32_e32 v28, 0x5f7ffffc, v28
	v_mul_f32_e32 v29, 0x2f800000, v28
	v_trunc_f32_e32 v29, v29
	v_madmk_f32 v28, v29, 0xcf800000, v28
	v_cvt_u32_f32_e32 v29, v29
	v_cvt_u32_f32_e32 v28, v28
	v_mul_lo_u32 v32, s36, v29
	v_mul_hi_u32 v34, s36, v28
	v_mul_lo_u32 v33, s37, v28
	v_add_u32_e32 v32, v34, v32
	v_mul_lo_u32 v35, s36, v28
	v_add_u32_e32 v32, v32, v33
	v_mul_hi_u32 v34, v28, v35
	v_mul_lo_u32 v36, v28, v32
	v_mul_hi_u32 v33, v28, v32
	v_add_co_u32_e32 v34, vcc, v34, v36
	v_addc_co_u32_e32 v33, vcc, 0, v33, vcc
	v_mul_hi_u32 v37, v29, v35
	v_mul_lo_u32 v35, v29, v35
	v_add_co_u32_e32 v34, vcc, v34, v35
	v_mul_hi_u32 v36, v29, v32
	v_addc_co_u32_e32 v33, vcc, v33, v37, vcc
	v_addc_co_u32_e32 v34, vcc, 0, v36, vcc
	v_mul_lo_u32 v32, v29, v32
	v_add_co_u32_e32 v32, vcc, v33, v32
	v_addc_co_u32_e32 v33, vcc, 0, v34, vcc
	v_add_co_u32_e32 v28, vcc, v28, v32
	v_addc_co_u32_e32 v29, vcc, v29, v33, vcc
	v_mul_lo_u32 v32, s36, v29
	v_mul_hi_u32 v33, s36, v28
	v_add_u32_e32 v32, v33, v32
	v_mul_lo_u32 v33, s37, v28
	v_add_u32_e32 v32, v32, v33
	v_mul_lo_u32 v34, s36, v28
	v_mul_hi_u32 v35, v29, v34
	v_mul_lo_u32 v36, v29, v34
	v_mul_lo_u32 v38, v28, v32
	v_mul_hi_u32 v34, v28, v34
	v_mul_hi_u32 v37, v28, v32
	v_add_co_u32_e32 v34, vcc, v34, v38
	v_addc_co_u32_e32 v37, vcc, 0, v37, vcc
	v_add_co_u32_e32 v34, vcc, v34, v36
	v_mul_hi_u32 v33, v29, v32
	v_addc_co_u32_e32 v34, vcc, v37, v35, vcc
	v_addc_co_u32_e32 v33, vcc, 0, v33, vcc
	v_mul_lo_u32 v32, v29, v32
	v_add_co_u32_e32 v32, vcc, v34, v32
	v_addc_co_u32_e32 v33, vcc, 0, v33, vcc
	v_add_co_u32_e32 v32, vcc, v28, v32
	v_addc_co_u32_e32 v33, vcc, v29, v33, vcc
	v_mad_u64_u32 v[28:29], s[36:37], v30, v33, 0
	v_mul_hi_u32 v34, v30, v32
	v_add_co_u32_e32 v34, vcc, v34, v28
	v_addc_co_u32_e32 v35, vcc, 0, v29, vcc
	v_mad_u64_u32 v[28:29], s[36:37], v31, v33, 0
	v_mad_u64_u32 v[32:33], s[36:37], v31, v32, 0
	v_add_co_u32_e32 v32, vcc, v34, v32
	v_addc_co_u32_e32 v32, vcc, v35, v33, vcc
	v_addc_co_u32_e32 v29, vcc, 0, v29, vcc
	v_add_co_u32_e32 v32, vcc, v32, v28
	v_addc_co_u32_e32 v33, vcc, 0, v29, vcc
	v_mul_lo_u32 v34, s47, v32
	v_mul_lo_u32 v35, s46, v33
	v_mad_u64_u32 v[28:29], s[36:37], s46, v32, 0
	v_add3_u32 v29, v29, v35, v34
	v_sub_u32_e32 v34, v31, v29
	v_mov_b32_e32 v35, s47
	v_sub_co_u32_e32 v28, vcc, v30, v28
	v_subb_co_u32_e64 v30, s[36:37], v34, v35, vcc
	v_subrev_co_u32_e64 v34, s[36:37], s46, v28
	v_subbrev_co_u32_e64 v30, s[36:37], 0, v30, s[36:37]
	v_cmp_le_u32_e64 s[36:37], s47, v30
	v_cndmask_b32_e64 v35, 0, -1, s[36:37]
	v_cmp_le_u32_e64 s[36:37], s46, v34
	v_cndmask_b32_e64 v34, 0, -1, s[36:37]
	v_cmp_eq_u32_e64 s[36:37], s47, v30
	v_cndmask_b32_e64 v30, v35, v34, s[36:37]
	v_add_co_u32_e64 v34, s[36:37], 2, v32
	v_subb_co_u32_e32 v29, vcc, v31, v29, vcc
	v_addc_co_u32_e64 v35, s[36:37], 0, v33, s[36:37]
	v_cmp_le_u32_e32 vcc, s47, v29
	v_add_co_u32_e64 v36, s[36:37], 1, v32
	v_cndmask_b32_e64 v31, 0, -1, vcc
	v_cmp_le_u32_e32 vcc, s46, v28
	v_addc_co_u32_e64 v37, s[36:37], 0, v33, s[36:37]
	v_cndmask_b32_e64 v28, 0, -1, vcc
	v_cmp_eq_u32_e32 vcc, s47, v29
	v_cmp_ne_u32_e64 s[36:37], 0, v30
	v_cndmask_b32_e32 v28, v31, v28, vcc
	v_cndmask_b32_e64 v30, v37, v35, s[36:37]
	v_cmp_ne_u32_e32 vcc, 0, v28
	v_cndmask_b32_e64 v28, v36, v34, s[36:37]
	v_cndmask_b32_e32 v29, v33, v30, vcc
	v_cndmask_b32_e32 v28, v32, v28, vcc
                                        ; implicit-def: $vgpr30
.LBB6_85:
	s_andn2_saveexec_b64 s[36:37], s[62:63]
	s_cbranch_execz .LBB6_87
; %bb.86:
	v_cvt_f32_u32_e32 v28, s46
	s_sub_i32 s62, 0, s46
	v_rcp_iflag_f32_e32 v28, v28
	v_mul_f32_e32 v28, 0x4f7ffffe, v28
	v_cvt_u32_f32_e32 v28, v28
	v_mul_lo_u32 v29, s62, v28
	v_mul_hi_u32 v29, v28, v29
	v_add_u32_e32 v28, v28, v29
	v_mul_hi_u32 v28, v30, v28
	v_mul_lo_u32 v29, v28, s46
	v_sub_u32_e32 v29, v30, v29
	v_add_u32_e32 v31, 1, v28
	v_subrev_u32_e32 v30, s46, v29
	v_cmp_le_u32_e32 vcc, s46, v29
	v_cndmask_b32_e32 v29, v29, v30, vcc
	v_cndmask_b32_e32 v28, v28, v31, vcc
	v_add_u32_e32 v30, 1, v28
	v_cmp_le_u32_e32 vcc, s46, v29
	v_cndmask_b32_e32 v28, v28, v30, vcc
	v_mov_b32_e32 v29, 0
.LBB6_87:
	s_or_b64 exec, exec, s[36:37]
.LBB6_88:
	s_or_b64 exec, exec, s[60:61]
	v_lshlrev_b32_e32 v30, 3, v0
	s_movk_i32 s36, 0x68
	ds_write2st64_b64 v30, v[2:3], v[4:5] offset1:4
	ds_write2st64_b64 v30, v[6:7], v[8:9] offset0:8 offset1:12
	ds_write2st64_b64 v30, v[10:11], v[12:13] offset0:16 offset1:20
	;; [unrolled: 1-line block ×6, first 2 shown]
	v_mad_u32_u24 v2, v0, s36, v30
	s_waitcnt lgkmcnt(0)
	s_barrier
	ds_read_b128 v[50:53], v2
	ds_read_b128 v[46:49], v2 offset:16
	ds_read_b128 v[42:45], v2 offset:32
	ds_read_b128 v[38:41], v2 offset:48
	ds_read_b128 v[34:37], v2 offset:64
	ds_read_b128 v[26:29], v2 offset:80
	ds_read_b128 v[30:33], v2 offset:96
	s_cmp_eq_u64 s[48:49], 0
	s_cbranch_scc1 .LBB6_97
; %bb.89:
	s_andn2_b64 vcc, exec, s[50:51]
	s_cbranch_vccnz .LBB6_93
; %bb.90:
	s_lshl_b64 s[36:37], s[48:49], 3
	s_add_u32 s36, s42, s36
	s_addc_u32 s37, s43, s37
	s_add_u32 s36, s36, -8
	s_addc_u32 s37, s37, -1
	s_load_dwordx2 s[36:37], s[36:37], 0x0
	s_waitcnt lgkmcnt(0)
	v_pk_mov_b32 v[54:55], s[36:37], s[36:37] op_sel:[0,1]
	s_cbranch_execz .LBB6_94
	s_branch .LBB6_97
.LBB6_91:
                                        ; implicit-def: $sgpr2_sgpr3
                                        ; implicit-def: $vgpr2_vgpr3_vgpr4_vgpr5_vgpr6_vgpr7_vgpr8_vgpr9
                                        ; implicit-def: $vgpr10_vgpr11_vgpr12_vgpr13_vgpr14_vgpr15_vgpr16_vgpr17
                                        ; implicit-def: $vgpr18_vgpr19_vgpr20_vgpr21_vgpr22_vgpr23_vgpr24_vgpr25
                                        ; implicit-def: $vgpr59
                                        ; implicit-def: $vgpr56_vgpr57
	s_and_b64 vcc, exec, s[16:17]
	s_cbranch_vccnz .LBB6_141
	s_branch .LBB6_225
.LBB6_92:
                                        ; implicit-def: $vgpr54_vgpr55
	s_branch .LBB6_3
.LBB6_93:
                                        ; implicit-def: $sgpr36_sgpr37
	v_pk_mov_b32 v[54:55], s[36:37], s[36:37] op_sel:[0,1]
.LBB6_94:
	s_add_u32 s60, s44, -1
	s_addc_u32 s61, s45, -1
	s_or_b64 s[36:37], s[60:61], s[46:47]
	s_mov_b32 s36, 0
	s_cmp_lg_u64 s[36:37], 0
	s_mov_b64 s[62:63], -1
	s_cbranch_scc0 .LBB6_306
; %bb.95:
	v_cvt_f32_u32_e32 v3, s46
	v_cvt_f32_u32_e32 v4, s47
	s_sub_u32 s36, 0, s46
	s_subb_u32 s37, 0, s47
	v_madmk_f32 v3, v4, 0x4f800000, v3
	v_rcp_f32_e32 v3, v3
	v_mul_f32_e32 v3, 0x5f7ffffc, v3
	v_mul_f32_e32 v4, 0x2f800000, v3
	v_trunc_f32_e32 v4, v4
	v_madmk_f32 v3, v4, 0xcf800000, v3
	v_cvt_u32_f32_e32 v4, v4
	v_cvt_u32_f32_e32 v3, v3
	v_readfirstlane_b32 s65, v4
	v_readfirstlane_b32 s66, v3
	s_mul_i32 s67, s36, s65
	s_mul_hi_u32 s69, s36, s66
	s_mul_i32 s68, s37, s66
	s_add_i32 s67, s69, s67
	s_add_i32 s67, s67, s68
	s_mul_i32 s70, s36, s66
	s_mul_hi_u32 s68, s66, s67
	s_mul_i32 s69, s66, s67
	s_mul_hi_u32 s66, s66, s70
	s_add_u32 s66, s66, s69
	s_addc_u32 s68, 0, s68
	s_mul_hi_u32 s71, s65, s70
	s_mul_i32 s70, s65, s70
	s_add_u32 s66, s66, s70
	s_mul_hi_u32 s69, s65, s67
	s_addc_u32 s66, s68, s71
	s_addc_u32 s68, s69, 0
	s_mul_i32 s67, s65, s67
	s_add_u32 s66, s66, s67
	s_addc_u32 s67, 0, s68
	v_add_co_u32_e32 v3, vcc, s66, v3
	s_cmp_lg_u64 vcc, 0
	s_addc_u32 s65, s65, s67
	v_readfirstlane_b32 s67, v3
	s_mul_i32 s66, s36, s65
	s_mul_hi_u32 s68, s36, s67
	s_add_i32 s66, s68, s66
	s_mul_i32 s37, s37, s67
	s_add_i32 s66, s66, s37
	s_mul_i32 s36, s36, s67
	s_mul_hi_u32 s68, s65, s36
	s_mul_i32 s69, s65, s36
	s_mul_i32 s71, s67, s66
	s_mul_hi_u32 s36, s67, s36
	s_mul_hi_u32 s70, s67, s66
	s_add_u32 s36, s36, s71
	s_addc_u32 s67, 0, s70
	s_add_u32 s36, s36, s69
	s_mul_hi_u32 s37, s65, s66
	s_addc_u32 s36, s67, s68
	s_addc_u32 s37, s37, 0
	s_mul_i32 s66, s65, s66
	s_add_u32 s36, s36, s66
	s_addc_u32 s37, 0, s37
	v_add_co_u32_e32 v3, vcc, s36, v3
	s_cmp_lg_u64 vcc, 0
	s_addc_u32 s36, s65, s37
	v_readfirstlane_b32 s66, v3
	s_mul_i32 s65, s60, s36
	s_mul_hi_u32 s67, s60, s66
	s_mul_hi_u32 s37, s60, s36
	s_add_u32 s65, s67, s65
	s_addc_u32 s37, 0, s37
	s_mul_hi_u32 s68, s61, s66
	s_mul_i32 s66, s61, s66
	s_add_u32 s65, s65, s66
	s_mul_hi_u32 s67, s61, s36
	s_addc_u32 s37, s37, s68
	s_addc_u32 s65, s67, 0
	s_mul_i32 s36, s61, s36
	s_add_u32 s66, s37, s36
	s_addc_u32 s65, 0, s65
	s_mul_i32 s36, s46, s65
	s_mul_hi_u32 s37, s46, s66
	s_add_i32 s36, s37, s36
	s_mul_i32 s37, s47, s66
	s_add_i32 s67, s36, s37
	s_mul_i32 s37, s46, s66
	v_mov_b32_e32 v3, s37
	s_sub_i32 s36, s61, s67
	v_sub_co_u32_e32 v3, vcc, s60, v3
	s_cmp_lg_u64 vcc, 0
	s_subb_u32 s68, s36, s47
	v_subrev_co_u32_e64 v4, s[36:37], s46, v3
	s_cmp_lg_u64 s[36:37], 0
	s_subb_u32 s68, s68, 0
	s_cmp_ge_u32 s68, s47
	s_cselect_b32 s69, -1, 0
	v_cmp_le_u32_e64 s[36:37], s46, v4
	s_cmp_eq_u32 s68, s47
	v_cndmask_b32_e64 v4, 0, -1, s[36:37]
	v_mov_b32_e32 v5, s69
	s_cselect_b64 s[36:37], -1, 0
	v_cndmask_b32_e64 v4, v5, v4, s[36:37]
	s_add_u32 s36, s66, 1
	s_addc_u32 s68, s65, 0
	s_add_u32 s37, s66, 2
	s_addc_u32 s69, s65, 0
	v_mov_b32_e32 v5, s36
	v_mov_b32_e32 v6, s37
	v_cmp_ne_u32_e64 s[36:37], 0, v4
	v_cndmask_b32_e64 v4, v5, v6, s[36:37]
	v_mov_b32_e32 v5, s68
	v_mov_b32_e32 v6, s69
	s_cmp_lg_u64 vcc, 0
	v_cndmask_b32_e64 v5, v5, v6, s[36:37]
	s_subb_u32 s36, s61, s67
	s_cmp_ge_u32 s36, s47
	s_cselect_b32 s37, -1, 0
	v_cmp_le_u32_e32 vcc, s46, v3
	s_cmp_eq_u32 s36, s47
	v_cndmask_b32_e64 v3, 0, -1, vcc
	v_mov_b32_e32 v6, s37
	s_cselect_b64 vcc, -1, 0
	v_cndmask_b32_e32 v3, v6, v3, vcc
	v_mov_b32_e32 v6, s65
	v_cmp_ne_u32_e32 vcc, 0, v3
	v_mov_b32_e32 v3, s66
	v_cndmask_b32_e32 v55, v6, v5, vcc
	v_cndmask_b32_e32 v54, v3, v4, vcc
	s_cbranch_execnz .LBB6_97
.LBB6_96:
	v_cvt_f32_u32_e32 v3, s46
	s_sub_i32 s36, 0, s46
	s_mov_b32 s37, 0
	v_rcp_iflag_f32_e32 v3, v3
	v_mul_f32_e32 v3, 0x4f7ffffe, v3
	v_cvt_u32_f32_e32 v3, v3
	v_readfirstlane_b32 s61, v3
	s_mul_i32 s36, s36, s61
	s_mul_hi_u32 s36, s61, s36
	s_add_i32 s61, s61, s36
	s_mul_hi_u32 s36, s60, s61
	s_mul_i32 s62, s36, s46
	s_sub_i32 s60, s60, s62
	s_add_i32 s61, s36, 1
	s_sub_i32 s62, s60, s46
	s_cmp_ge_u32 s60, s46
	s_cselect_b32 s36, s61, s36
	s_cselect_b32 s60, s62, s60
	s_add_i32 s61, s36, 1
	s_cmp_ge_u32 s60, s46
	s_cselect_b32 s36, s61, s36
	v_pk_mov_b32 v[54:55], s[36:37], s[36:37] op_sel:[0,1]
.LBB6_97:
	s_movk_i32 s36, 0xff98
	v_mad_i32_i24 v2, v0, s36, v2
	v_cmp_ne_u32_e32 vcc, 0, v0
	s_waitcnt lgkmcnt(0)
	ds_write_b64 v2, v[32:33] offset:28672
	s_waitcnt lgkmcnt(0)
	s_barrier
	s_and_saveexec_b64 s[36:37], vcc
	s_cbranch_execz .LBB6_99
; %bb.98:
	ds_read_b64 v[54:55], v2 offset:28664
.LBB6_99:
	s_or_b64 exec, exec, s[36:37]
	s_waitcnt lgkmcnt(0)
	s_barrier
	s_waitcnt lgkmcnt(0)
                                        ; implicit-def: $vgpr3
	s_and_saveexec_b64 s[36:37], s[2:3]
	s_cbranch_execnz .LBB6_200
; %bb.100:
	s_or_b64 exec, exec, s[36:37]
                                        ; implicit-def: $vgpr4
	s_and_saveexec_b64 s[2:3], s[34:35]
	s_cbranch_execnz .LBB6_201
.LBB6_101:
	s_or_b64 exec, exec, s[2:3]
                                        ; implicit-def: $vgpr5
	s_and_saveexec_b64 s[2:3], s[8:9]
	s_cbranch_execnz .LBB6_202
.LBB6_102:
	s_or_b64 exec, exec, s[2:3]
                                        ; implicit-def: $vgpr6
	s_and_saveexec_b64 s[2:3], s[10:11]
	s_cbranch_execnz .LBB6_203
.LBB6_103:
	s_or_b64 exec, exec, s[2:3]
                                        ; implicit-def: $vgpr7
	s_and_saveexec_b64 s[2:3], s[12:13]
	s_cbranch_execnz .LBB6_204
.LBB6_104:
	s_or_b64 exec, exec, s[2:3]
                                        ; implicit-def: $vgpr8
	s_and_saveexec_b64 s[2:3], s[14:15]
	s_cbranch_execnz .LBB6_205
.LBB6_105:
	s_or_b64 exec, exec, s[2:3]
                                        ; implicit-def: $vgpr9
	s_and_saveexec_b64 s[2:3], s[16:17]
	s_cbranch_execnz .LBB6_206
.LBB6_106:
	s_or_b64 exec, exec, s[2:3]
                                        ; implicit-def: $vgpr10
	s_and_saveexec_b64 s[2:3], s[18:19]
	s_cbranch_execnz .LBB6_207
.LBB6_107:
	s_or_b64 exec, exec, s[2:3]
                                        ; implicit-def: $vgpr11
	s_and_saveexec_b64 s[2:3], s[20:21]
	s_cbranch_execnz .LBB6_208
.LBB6_108:
	s_or_b64 exec, exec, s[2:3]
                                        ; implicit-def: $vgpr12
	s_and_saveexec_b64 s[2:3], s[22:23]
	s_cbranch_execnz .LBB6_209
.LBB6_109:
	s_or_b64 exec, exec, s[2:3]
                                        ; implicit-def: $vgpr13
	s_and_saveexec_b64 s[2:3], s[24:25]
	s_cbranch_execnz .LBB6_210
.LBB6_110:
	s_or_b64 exec, exec, s[2:3]
                                        ; implicit-def: $vgpr14
	s_and_saveexec_b64 s[2:3], s[26:27]
	s_cbranch_execnz .LBB6_211
.LBB6_111:
	s_or_b64 exec, exec, s[2:3]
                                        ; implicit-def: $vgpr15
	s_and_saveexec_b64 s[2:3], s[28:29]
	s_cbranch_execnz .LBB6_212
.LBB6_112:
	s_or_b64 exec, exec, s[2:3]
                                        ; implicit-def: $vgpr16
	s_and_saveexec_b64 s[2:3], s[30:31]
	s_cbranch_execz .LBB6_114
.LBB6_113:
	v_lshlrev_b32_e32 v1, 2, v64
	v_mov_b32_e32 v17, s55
	v_add_co_u32_e32 v16, vcc, s7, v1
	v_addc_co_u32_e32 v17, vcc, 0, v17, vcc
	flat_load_dword v16, v[16:17]
.LBB6_114:
	s_or_b64 exec, exec, s[2:3]
	v_lshlrev_b32_e32 v17, 2, v0
	s_mov_b32 s8, 0
	v_sub_u32_e32 v58, v2, v17
	s_mov_b32 s9, s8
	s_waitcnt vmcnt(0) lgkmcnt(0)
	ds_write2st64_b32 v58, v3, v4 offset1:4
	ds_write2st64_b32 v58, v5, v6 offset0:8 offset1:12
	ds_write2st64_b32 v58, v7, v8 offset0:16 offset1:20
	;; [unrolled: 1-line block ×6, first 2 shown]
	s_mov_b32 s10, s8
	s_mov_b32 s11, s8
	;; [unrolled: 1-line block ×6, first 2 shown]
	v_pk_mov_b32 v[2:3], s[8:9], s[8:9] op_sel:[0,1]
	v_pk_mov_b32 v[8:9], s[14:15], s[14:15] op_sel:[0,1]
	v_mul_u32_u24_e32 v1, 14, v0
	v_pk_mov_b32 v[4:5], s[10:11], s[10:11] op_sel:[0,1]
	v_pk_mov_b32 v[6:7], s[12:13], s[12:13] op_sel:[0,1]
	;; [unrolled: 1-line block ×4, first 2 shown]
	v_cmp_gt_u32_e32 vcc, s64, v1
	s_mov_b64 s[16:17], 0
	v_pk_mov_b32 v[56:57], 0, 0
	s_mov_b64 s[20:21], 0
	v_pk_mov_b32 v[14:15], v[6:7], v[6:7] op_sel:[0,1]
	v_pk_mov_b32 v[12:13], v[4:5], v[4:5] op_sel:[0,1]
	;; [unrolled: 1-line block ×6, first 2 shown]
	s_waitcnt lgkmcnt(0)
	s_barrier
	s_waitcnt lgkmcnt(0)
                                        ; implicit-def: $sgpr2_sgpr3
                                        ; implicit-def: $vgpr59
	s_and_saveexec_b64 s[18:19], vcc
	s_cbranch_execz .LBB6_140
; %bb.115:
	v_mad_u32_u24 v3, v0, 52, v58
	v_or_b32_e32 v2, 1, v1
	ds_read_b32 v56, v3
	v_cmp_ne_u64_e32 vcc, v[54:55], v[50:51]
	v_cndmask_b32_e64 v57, 0, 1, vcc
	v_cmp_gt_u32_e32 vcc, s64, v2
	v_pk_mov_b32 v[2:3], s[8:9], s[8:9] op_sel:[0,1]
	v_pk_mov_b32 v[8:9], s[14:15], s[14:15] op_sel:[0,1]
	;; [unrolled: 1-line block ×6, first 2 shown]
	s_mov_b64 s[22:23], 0
	v_pk_mov_b32 v[14:15], v[6:7], v[6:7] op_sel:[0,1]
	v_pk_mov_b32 v[12:13], v[4:5], v[4:5] op_sel:[0,1]
	;; [unrolled: 1-line block ×6, first 2 shown]
                                        ; implicit-def: $sgpr8_sgpr9
                                        ; implicit-def: $vgpr59
	s_and_saveexec_b64 s[20:21], vcc
	s_cbranch_execz .LBB6_139
; %bb.116:
	v_mul_u32_u24_e32 v2, 52, v0
	v_add_u32_e32 v58, v58, v2
	ds_read2_b32 v[54:55], v58 offset0:1 offset1:2
	s_mov_b32 s8, 0
	s_mov_b32 s14, s8
	;; [unrolled: 1-line block ×8, first 2 shown]
	v_pk_mov_b32 v[16:17], s[14:15], s[14:15] op_sel:[0,1]
	v_add_u32_e32 v2, 2, v1
	v_cmp_ne_u64_e32 vcc, v[50:51], v[52:53]
	v_mov_b32_e32 v6, 0
	v_pk_mov_b32 v[14:15], s[12:13], s[12:13] op_sel:[0,1]
	v_pk_mov_b32 v[12:13], s[10:11], s[10:11] op_sel:[0,1]
	;; [unrolled: 1-line block ×4, first 2 shown]
	v_cndmask_b32_e64 v3, 0, 1, vcc
	v_cmp_gt_u32_e32 vcc, s64, v2
	s_waitcnt lgkmcnt(0)
	v_mov_b32_e32 v2, v54
	v_mov_b32_e32 v4, v6
	;; [unrolled: 1-line block ×6, first 2 shown]
	s_mov_b64 s[2:3], 0
	v_pk_mov_b32 v[22:23], v[14:15], v[14:15] op_sel:[0,1]
	v_pk_mov_b32 v[20:21], v[12:13], v[12:13] op_sel:[0,1]
	;; [unrolled: 1-line block ×3, first 2 shown]
                                        ; implicit-def: $sgpr24_sgpr25
                                        ; implicit-def: $vgpr59
	s_and_saveexec_b64 s[22:23], vcc
	s_cbranch_execz .LBB6_138
; %bb.117:
	v_pk_mov_b32 v[16:17], s[14:15], s[14:15] op_sel:[0,1]
	v_add_u32_e32 v2, 3, v1
	v_cmp_ne_u64_e32 vcc, v[52:53], v[46:47]
	v_pk_mov_b32 v[14:15], s[12:13], s[12:13] op_sel:[0,1]
	v_pk_mov_b32 v[12:13], s[10:11], s[10:11] op_sel:[0,1]
	;; [unrolled: 1-line block ×4, first 2 shown]
	v_cndmask_b32_e64 v5, 0, 1, vcc
	v_cmp_gt_u32_e32 vcc, s64, v2
	v_mov_b32_e32 v2, v54
	v_mov_b32_e32 v4, v55
	;; [unrolled: 1-line block ×5, first 2 shown]
	v_pk_mov_b32 v[22:23], v[14:15], v[14:15] op_sel:[0,1]
	v_pk_mov_b32 v[20:21], v[12:13], v[12:13] op_sel:[0,1]
	;; [unrolled: 1-line block ×3, first 2 shown]
                                        ; implicit-def: $sgpr8_sgpr9
                                        ; implicit-def: $vgpr59
	s_and_saveexec_b64 s[24:25], vcc
	s_cbranch_execz .LBB6_137
; %bb.118:
	ds_read2_b32 v[50:51], v58 offset0:3 offset1:4
	s_mov_b32 s8, 0
	s_mov_b32 s14, s8
	;; [unrolled: 1-line block ×8, first 2 shown]
	v_pk_mov_b32 v[16:17], s[14:15], s[14:15] op_sel:[0,1]
	v_add_u32_e32 v6, 4, v1
	v_cmp_ne_u64_e32 vcc, v[46:47], v[48:49]
	v_pk_mov_b32 v[14:15], s[12:13], s[12:13] op_sel:[0,1]
	v_pk_mov_b32 v[12:13], s[10:11], s[10:11] op_sel:[0,1]
	v_pk_mov_b32 v[10:11], s[8:9], s[8:9] op_sel:[0,1]
	v_pk_mov_b32 v[24:25], v[16:17], v[16:17] op_sel:[0,1]
	v_cndmask_b32_e64 v7, 0, 1, vcc
	v_cmp_gt_u32_e32 vcc, s64, v6
	s_waitcnt lgkmcnt(0)
	v_mov_b32_e32 v6, v50
	v_mov_b32_e32 v8, s8
	v_mov_b32_e32 v9, s8
	v_pk_mov_b32 v[22:23], v[14:15], v[14:15] op_sel:[0,1]
	v_pk_mov_b32 v[20:21], v[12:13], v[12:13] op_sel:[0,1]
	;; [unrolled: 1-line block ×3, first 2 shown]
                                        ; implicit-def: $sgpr28_sgpr29
                                        ; implicit-def: $vgpr59
	s_and_saveexec_b64 s[26:27], vcc
	s_cbranch_execz .LBB6_136
; %bb.119:
	v_pk_mov_b32 v[16:17], s[14:15], s[14:15] op_sel:[0,1]
	v_add_u32_e32 v8, 5, v1
	v_cmp_ne_u64_e32 vcc, v[48:49], v[42:43]
	v_pk_mov_b32 v[14:15], s[12:13], s[12:13] op_sel:[0,1]
	v_pk_mov_b32 v[12:13], s[10:11], s[10:11] op_sel:[0,1]
	;; [unrolled: 1-line block ×4, first 2 shown]
	v_cndmask_b32_e64 v9, 0, 1, vcc
	v_cmp_gt_u32_e32 vcc, s64, v8
	v_mov_b32_e32 v8, v51
	v_pk_mov_b32 v[22:23], v[14:15], v[14:15] op_sel:[0,1]
	v_pk_mov_b32 v[20:21], v[12:13], v[12:13] op_sel:[0,1]
	;; [unrolled: 1-line block ×3, first 2 shown]
                                        ; implicit-def: $sgpr8_sgpr9
                                        ; implicit-def: $vgpr59
	s_and_saveexec_b64 s[28:29], vcc
	s_cbranch_execz .LBB6_135
; %bb.120:
	ds_read2_b32 v[46:47], v58 offset0:5 offset1:6
	s_mov_b32 s8, 0
	s_mov_b32 s14, s8
	;; [unrolled: 1-line block ×3, first 2 shown]
	v_add_u32_e32 v10, 6, v1
	v_cmp_ne_u64_e32 vcc, v[42:43], v[44:45]
	v_mov_b32_e32 v14, 0
	s_mov_b32 s9, s8
	s_mov_b32 s10, s8
	;; [unrolled: 1-line block ×5, first 2 shown]
	v_pk_mov_b32 v[24:25], s[14:15], s[14:15] op_sel:[0,1]
	v_cndmask_b32_e64 v11, 0, 1, vcc
	v_cmp_gt_u32_e32 vcc, s64, v10
	s_waitcnt lgkmcnt(0)
	v_mov_b32_e32 v10, v46
	v_mov_b32_e32 v12, v14
	;; [unrolled: 1-line block ×6, first 2 shown]
	v_pk_mov_b32 v[22:23], s[12:13], s[12:13] op_sel:[0,1]
	v_pk_mov_b32 v[20:21], s[10:11], s[10:11] op_sel:[0,1]
	;; [unrolled: 1-line block ×3, first 2 shown]
                                        ; implicit-def: $sgpr34_sgpr35
                                        ; implicit-def: $vgpr59
	s_and_saveexec_b64 s[30:31], vcc
	s_cbranch_execz .LBB6_134
; %bb.121:
	v_add_u32_e32 v10, 7, v1
	v_cmp_ne_u64_e32 vcc, v[44:45], v[38:39]
	v_pk_mov_b32 v[24:25], s[14:15], s[14:15] op_sel:[0,1]
	v_cndmask_b32_e64 v13, 0, 1, vcc
	v_cmp_gt_u32_e32 vcc, s64, v10
	v_mov_b32_e32 v10, v46
	v_mov_b32_e32 v12, v47
	;; [unrolled: 1-line block ×5, first 2 shown]
	v_pk_mov_b32 v[22:23], s[12:13], s[12:13] op_sel:[0,1]
	v_pk_mov_b32 v[20:21], s[10:11], s[10:11] op_sel:[0,1]
	;; [unrolled: 1-line block ×3, first 2 shown]
                                        ; implicit-def: $sgpr8_sgpr9
                                        ; implicit-def: $vgpr59
	s_and_saveexec_b64 s[34:35], vcc
	s_cbranch_execz .LBB6_133
; %bb.122:
	ds_read2_b32 v[42:43], v58 offset0:7 offset1:8
	s_mov_b32 s8, 0
	s_mov_b32 s14, s8
	;; [unrolled: 1-line block ×3, first 2 shown]
	v_add_u32_e32 v14, 8, v1
	v_cmp_ne_u64_e32 vcc, v[38:39], v[40:41]
	s_mov_b32 s9, s8
	s_mov_b32 s10, s8
	;; [unrolled: 1-line block ×5, first 2 shown]
	v_pk_mov_b32 v[24:25], s[14:15], s[14:15] op_sel:[0,1]
	v_cndmask_b32_e64 v15, 0, 1, vcc
	v_cmp_gt_u32_e32 vcc, s64, v14
	s_waitcnt lgkmcnt(0)
	v_mov_b32_e32 v14, v42
	v_mov_b32_e32 v16, s8
	;; [unrolled: 1-line block ×3, first 2 shown]
	v_pk_mov_b32 v[22:23], s[12:13], s[12:13] op_sel:[0,1]
	v_pk_mov_b32 v[20:21], s[10:11], s[10:11] op_sel:[0,1]
	;; [unrolled: 1-line block ×3, first 2 shown]
                                        ; implicit-def: $sgpr60_sgpr61
                                        ; implicit-def: $vgpr59
	s_and_saveexec_b64 s[36:37], vcc
	s_cbranch_execz .LBB6_132
; %bb.123:
	v_add_u32_e32 v16, 9, v1
	v_cmp_ne_u64_e32 vcc, v[40:41], v[34:35]
	v_pk_mov_b32 v[24:25], s[14:15], s[14:15] op_sel:[0,1]
	v_cndmask_b32_e64 v17, 0, 1, vcc
	v_cmp_gt_u32_e32 vcc, s64, v16
	v_mov_b32_e32 v16, v43
	v_pk_mov_b32 v[22:23], s[12:13], s[12:13] op_sel:[0,1]
	v_pk_mov_b32 v[20:21], s[10:11], s[10:11] op_sel:[0,1]
	;; [unrolled: 1-line block ×3, first 2 shown]
                                        ; implicit-def: $sgpr10_sgpr11
                                        ; implicit-def: $vgpr59
	s_and_saveexec_b64 s[8:9], vcc
	s_cbranch_execz .LBB6_131
; %bb.124:
	ds_read2_b32 v[38:39], v58 offset0:9 offset1:10
	v_add_u32_e32 v18, 10, v1
	v_cmp_ne_u64_e32 vcc, v[34:35], v[36:37]
	v_mov_b32_e32 v22, 0
	v_cndmask_b32_e64 v19, 0, 1, vcc
	v_cmp_gt_u32_e32 vcc, s64, v18
	s_waitcnt lgkmcnt(0)
	v_mov_b32_e32 v18, v38
	v_mov_b32_e32 v20, v22
	;; [unrolled: 1-line block ×6, first 2 shown]
                                        ; implicit-def: $sgpr12_sgpr13
                                        ; implicit-def: $vgpr59
	s_and_saveexec_b64 s[10:11], vcc
	s_cbranch_execz .LBB6_130
; %bb.125:
	v_add_u32_e32 v18, 11, v1
	v_cmp_ne_u64_e32 vcc, v[36:37], v[26:27]
	v_cndmask_b32_e64 v21, 0, 1, vcc
	v_cmp_gt_u32_e32 vcc, s64, v18
	s_mov_b32 s60, 0
	v_mov_b32_e32 v18, v38
	v_mov_b32_e32 v20, v39
	;; [unrolled: 1-line block ×5, first 2 shown]
                                        ; implicit-def: $sgpr14_sgpr15
                                        ; implicit-def: $vgpr59
	s_and_saveexec_b64 s[12:13], vcc
	s_cbranch_execz .LBB6_129
; %bb.126:
	ds_read2_b32 v[34:35], v58 offset0:11 offset1:12
	v_add_u32_e32 v22, 12, v1
	v_cmp_ne_u64_e32 vcc, v[26:27], v[28:29]
	v_cndmask_b32_e64 v23, 0, 1, vcc
	v_cmp_gt_u32_e32 vcc, s64, v22
	s_waitcnt lgkmcnt(0)
	v_mov_b32_e32 v22, v34
	v_mov_b32_e32 v24, s60
	;; [unrolled: 1-line block ×3, first 2 shown]
                                        ; implicit-def: $sgpr14_sgpr15
                                        ; implicit-def: $vgpr59
	s_and_saveexec_b64 s[60:61], vcc
	s_xor_b64 s[60:61], exec, s[60:61]
	s_cbranch_execz .LBB6_128
; %bb.127:
	ds_read_b32 v59, v58 offset:52
	v_add_u32_e32 v1, 13, v1
	v_cmp_ne_u64_e64 s[2:3], v[28:29], v[30:31]
	v_cmp_ne_u64_e32 vcc, v[30:31], v[32:33]
	v_cndmask_b32_e64 v25, 0, 1, s[2:3]
	v_cmp_gt_u32_e64 s[2:3], s64, v1
	v_mov_b32_e32 v24, v35
	s_and_b64 s[14:15], vcc, exec
	s_and_b64 s[2:3], s[2:3], exec
.LBB6_128:
	s_or_b64 exec, exec, s[60:61]
	s_and_b64 s[14:15], s[14:15], exec
	s_and_b64 s[2:3], s[2:3], exec
.LBB6_129:
	s_or_b64 exec, exec, s[12:13]
	s_and_b64 s[12:13], s[14:15], exec
	s_and_b64 s[2:3], s[2:3], exec
.LBB6_130:
	s_or_b64 exec, exec, s[10:11]
	s_and_b64 s[10:11], s[12:13], exec
	s_and_b64 s[2:3], s[2:3], exec
.LBB6_131:
	s_or_b64 exec, exec, s[8:9]
	s_and_b64 s[60:61], s[10:11], exec
	s_and_b64 s[2:3], s[2:3], exec
.LBB6_132:
	s_or_b64 exec, exec, s[36:37]
	s_and_b64 s[8:9], s[60:61], exec
	s_and_b64 s[2:3], s[2:3], exec
.LBB6_133:
	s_or_b64 exec, exec, s[34:35]
	s_and_b64 s[34:35], s[8:9], exec
	s_and_b64 s[2:3], s[2:3], exec
.LBB6_134:
	s_or_b64 exec, exec, s[30:31]
	s_and_b64 s[8:9], s[34:35], exec
	s_and_b64 s[2:3], s[2:3], exec
.LBB6_135:
	s_or_b64 exec, exec, s[28:29]
	s_and_b64 s[28:29], s[8:9], exec
	s_and_b64 s[2:3], s[2:3], exec
.LBB6_136:
	s_or_b64 exec, exec, s[26:27]
	s_and_b64 s[8:9], s[28:29], exec
	s_and_b64 s[2:3], s[2:3], exec
.LBB6_137:
	s_or_b64 exec, exec, s[24:25]
	s_and_b64 s[24:25], s[8:9], exec
	s_and_b64 s[2:3], s[2:3], exec
.LBB6_138:
	s_or_b64 exec, exec, s[22:23]
	s_and_b64 s[8:9], s[24:25], exec
	s_and_b64 s[22:23], s[2:3], exec
.LBB6_139:
	s_or_b64 exec, exec, s[20:21]
	s_and_b64 s[2:3], s[8:9], exec
	s_and_b64 s[20:21], s[22:23], exec
.LBB6_140:
	s_or_b64 exec, exec, s[18:19]
	s_and_b64 vcc, exec, s[16:17]
	s_cbranch_vccz .LBB6_225
.LBB6_141:
	v_mov_b32_e32 v1, s45
	v_add_co_u32_e32 v28, vcc, s44, v0
	v_addc_co_u32_e32 v1, vcc, 0, v1, vcc
	v_mov_b32_e32 v2, 0
	v_or_b32_e32 v3, s47, v1
	v_cmp_ne_u64_e32 vcc, 0, v[2:3]
                                        ; implicit-def: $vgpr2_vgpr3
	s_and_saveexec_b64 s[2:3], vcc
	s_xor_b64 s[8:9], exec, s[2:3]
	s_cbranch_execz .LBB6_143
; %bb.142:
	v_cvt_f32_u32_e32 v2, s46
	v_cvt_f32_u32_e32 v3, s47
	s_sub_u32 s2, 0, s46
	s_subb_u32 s3, 0, s47
	v_madmk_f32 v2, v3, 0x4f800000, v2
	v_rcp_f32_e32 v2, v2
	v_mul_f32_e32 v2, 0x5f7ffffc, v2
	v_mul_f32_e32 v3, 0x2f800000, v2
	v_trunc_f32_e32 v3, v3
	v_madmk_f32 v2, v3, 0xcf800000, v2
	v_cvt_u32_f32_e32 v3, v3
	v_cvt_u32_f32_e32 v2, v2
	v_mul_lo_u32 v4, s2, v3
	v_mul_hi_u32 v6, s2, v2
	v_mul_lo_u32 v5, s3, v2
	v_add_u32_e32 v4, v6, v4
	v_mul_lo_u32 v7, s2, v2
	v_add_u32_e32 v4, v4, v5
	v_mul_hi_u32 v6, v2, v7
	v_mul_lo_u32 v8, v2, v4
	v_mul_hi_u32 v5, v2, v4
	v_add_co_u32_e32 v6, vcc, v6, v8
	v_addc_co_u32_e32 v5, vcc, 0, v5, vcc
	v_mul_hi_u32 v9, v3, v7
	v_mul_lo_u32 v7, v3, v7
	v_add_co_u32_e32 v6, vcc, v6, v7
	v_mul_hi_u32 v8, v3, v4
	v_addc_co_u32_e32 v5, vcc, v5, v9, vcc
	v_addc_co_u32_e32 v6, vcc, 0, v8, vcc
	v_mul_lo_u32 v4, v3, v4
	v_add_co_u32_e32 v4, vcc, v5, v4
	v_addc_co_u32_e32 v5, vcc, 0, v6, vcc
	v_add_co_u32_e32 v2, vcc, v2, v4
	v_addc_co_u32_e32 v3, vcc, v3, v5, vcc
	v_mul_lo_u32 v4, s2, v3
	v_mul_hi_u32 v5, s2, v2
	v_add_u32_e32 v4, v5, v4
	v_mul_lo_u32 v5, s3, v2
	v_add_u32_e32 v4, v4, v5
	v_mul_lo_u32 v6, s2, v2
	v_mul_hi_u32 v7, v3, v6
	v_mul_lo_u32 v8, v3, v6
	v_mul_lo_u32 v10, v2, v4
	v_mul_hi_u32 v6, v2, v6
	v_mul_hi_u32 v9, v2, v4
	v_add_co_u32_e32 v6, vcc, v6, v10
	v_addc_co_u32_e32 v9, vcc, 0, v9, vcc
	v_add_co_u32_e32 v6, vcc, v6, v8
	v_mul_hi_u32 v5, v3, v4
	v_addc_co_u32_e32 v6, vcc, v9, v7, vcc
	v_addc_co_u32_e32 v5, vcc, 0, v5, vcc
	v_mul_lo_u32 v4, v3, v4
	v_add_co_u32_e32 v4, vcc, v6, v4
	v_addc_co_u32_e32 v5, vcc, 0, v5, vcc
	v_add_co_u32_e32 v4, vcc, v2, v4
	v_addc_co_u32_e32 v5, vcc, v3, v5, vcc
	v_mad_u64_u32 v[2:3], s[2:3], v28, v5, 0
	v_mul_hi_u32 v6, v28, v4
	v_add_co_u32_e32 v6, vcc, v6, v2
	v_addc_co_u32_e32 v7, vcc, 0, v3, vcc
	v_mad_u64_u32 v[2:3], s[2:3], v1, v5, 0
	v_mad_u64_u32 v[4:5], s[2:3], v1, v4, 0
	v_add_co_u32_e32 v4, vcc, v6, v4
	v_addc_co_u32_e32 v4, vcc, v7, v5, vcc
	v_addc_co_u32_e32 v3, vcc, 0, v3, vcc
	v_add_co_u32_e32 v4, vcc, v4, v2
	v_addc_co_u32_e32 v5, vcc, 0, v3, vcc
	v_mul_lo_u32 v6, s47, v4
	v_mul_lo_u32 v7, s46, v5
	v_mad_u64_u32 v[2:3], s[2:3], s46, v4, 0
	v_add3_u32 v3, v3, v7, v6
	v_sub_u32_e32 v6, v1, v3
	v_mov_b32_e32 v7, s47
	v_sub_co_u32_e32 v2, vcc, v28, v2
	v_subb_co_u32_e64 v6, s[2:3], v6, v7, vcc
	v_subrev_co_u32_e64 v7, s[2:3], s46, v2
	v_subbrev_co_u32_e64 v6, s[2:3], 0, v6, s[2:3]
	v_cmp_le_u32_e64 s[2:3], s47, v6
	v_cndmask_b32_e64 v8, 0, -1, s[2:3]
	v_cmp_le_u32_e64 s[2:3], s46, v7
	v_cndmask_b32_e64 v7, 0, -1, s[2:3]
	v_cmp_eq_u32_e64 s[2:3], s47, v6
	v_cndmask_b32_e64 v6, v8, v7, s[2:3]
	v_add_co_u32_e64 v7, s[2:3], 2, v4
	v_addc_co_u32_e64 v8, s[2:3], 0, v5, s[2:3]
	v_add_co_u32_e64 v9, s[2:3], 1, v4
	v_addc_co_u32_e64 v10, s[2:3], 0, v5, s[2:3]
	v_subb_co_u32_e32 v3, vcc, v1, v3, vcc
	v_cmp_ne_u32_e64 s[2:3], 0, v6
	v_cmp_le_u32_e32 vcc, s47, v3
	v_cndmask_b32_e64 v6, v10, v8, s[2:3]
	v_cndmask_b32_e64 v8, 0, -1, vcc
	v_cmp_le_u32_e32 vcc, s46, v2
	v_cndmask_b32_e64 v2, 0, -1, vcc
	v_cmp_eq_u32_e32 vcc, s47, v3
	v_cndmask_b32_e32 v2, v8, v2, vcc
	v_cmp_ne_u32_e32 vcc, 0, v2
	v_cndmask_b32_e64 v2, v9, v7, s[2:3]
	v_cndmask_b32_e32 v3, v5, v6, vcc
	v_cndmask_b32_e32 v2, v4, v2, vcc
.LBB6_143:
	s_andn2_saveexec_b64 s[2:3], s[8:9]
	s_cbranch_execz .LBB6_145
; %bb.144:
	v_cvt_f32_u32_e32 v2, s46
	s_sub_i32 s8, 0, s46
	v_rcp_iflag_f32_e32 v2, v2
	v_mul_f32_e32 v2, 0x4f7ffffe, v2
	v_cvt_u32_f32_e32 v2, v2
	v_mul_lo_u32 v3, s8, v2
	v_mul_hi_u32 v3, v2, v3
	v_add_u32_e32 v2, v2, v3
	v_mul_hi_u32 v2, v28, v2
	v_mul_lo_u32 v3, v2, s46
	v_sub_u32_e32 v3, v28, v3
	v_add_u32_e32 v4, 1, v2
	v_subrev_u32_e32 v5, s46, v3
	v_cmp_le_u32_e32 vcc, s46, v3
	v_cndmask_b32_e32 v3, v3, v5, vcc
	v_cndmask_b32_e32 v2, v2, v4, vcc
	v_add_u32_e32 v4, 1, v2
	v_cmp_le_u32_e32 vcc, s46, v3
	v_cndmask_b32_e32 v2, v2, v4, vcc
	v_mov_b32_e32 v3, 0
.LBB6_145:
	s_or_b64 exec, exec, s[2:3]
	v_add_co_u32_e32 v6, vcc, 0x100, v28
	v_addc_co_u32_e32 v7, vcc, 0, v1, vcc
	v_or_b32_e32 v5, s47, v7
	v_mov_b32_e32 v4, 0
	v_cmp_ne_u64_e32 vcc, 0, v[4:5]
                                        ; implicit-def: $vgpr4_vgpr5
	s_and_saveexec_b64 s[2:3], vcc
	s_xor_b64 s[8:9], exec, s[2:3]
	s_cbranch_execz .LBB6_147
; %bb.146:
	v_cvt_f32_u32_e32 v4, s46
	v_cvt_f32_u32_e32 v5, s47
	s_sub_u32 s2, 0, s46
	s_subb_u32 s3, 0, s47
	v_madmk_f32 v4, v5, 0x4f800000, v4
	v_rcp_f32_e32 v4, v4
	v_mul_f32_e32 v4, 0x5f7ffffc, v4
	v_mul_f32_e32 v5, 0x2f800000, v4
	v_trunc_f32_e32 v5, v5
	v_madmk_f32 v4, v5, 0xcf800000, v4
	v_cvt_u32_f32_e32 v5, v5
	v_cvt_u32_f32_e32 v4, v4
	v_mul_lo_u32 v8, s2, v5
	v_mul_hi_u32 v10, s2, v4
	v_mul_lo_u32 v9, s3, v4
	v_add_u32_e32 v8, v10, v8
	v_mul_lo_u32 v11, s2, v4
	v_add_u32_e32 v8, v8, v9
	v_mul_hi_u32 v10, v4, v11
	v_mul_lo_u32 v12, v4, v8
	v_mul_hi_u32 v9, v4, v8
	v_add_co_u32_e32 v10, vcc, v10, v12
	v_addc_co_u32_e32 v9, vcc, 0, v9, vcc
	v_mul_hi_u32 v13, v5, v11
	v_mul_lo_u32 v11, v5, v11
	v_add_co_u32_e32 v10, vcc, v10, v11
	v_mul_hi_u32 v12, v5, v8
	v_addc_co_u32_e32 v9, vcc, v9, v13, vcc
	v_addc_co_u32_e32 v10, vcc, 0, v12, vcc
	v_mul_lo_u32 v8, v5, v8
	v_add_co_u32_e32 v8, vcc, v9, v8
	v_addc_co_u32_e32 v9, vcc, 0, v10, vcc
	v_add_co_u32_e32 v4, vcc, v4, v8
	v_addc_co_u32_e32 v5, vcc, v5, v9, vcc
	v_mul_lo_u32 v8, s2, v5
	v_mul_hi_u32 v9, s2, v4
	v_add_u32_e32 v8, v9, v8
	v_mul_lo_u32 v9, s3, v4
	v_add_u32_e32 v8, v8, v9
	v_mul_lo_u32 v10, s2, v4
	v_mul_hi_u32 v11, v5, v10
	v_mul_lo_u32 v12, v5, v10
	v_mul_lo_u32 v14, v4, v8
	v_mul_hi_u32 v10, v4, v10
	v_mul_hi_u32 v13, v4, v8
	v_add_co_u32_e32 v10, vcc, v10, v14
	v_addc_co_u32_e32 v13, vcc, 0, v13, vcc
	v_add_co_u32_e32 v10, vcc, v10, v12
	v_mul_hi_u32 v9, v5, v8
	v_addc_co_u32_e32 v10, vcc, v13, v11, vcc
	v_addc_co_u32_e32 v9, vcc, 0, v9, vcc
	v_mul_lo_u32 v8, v5, v8
	v_add_co_u32_e32 v8, vcc, v10, v8
	v_addc_co_u32_e32 v9, vcc, 0, v9, vcc
	v_add_co_u32_e32 v8, vcc, v4, v8
	v_addc_co_u32_e32 v9, vcc, v5, v9, vcc
	v_mad_u64_u32 v[4:5], s[2:3], v6, v9, 0
	v_mul_hi_u32 v10, v6, v8
	v_add_co_u32_e32 v10, vcc, v10, v4
	v_addc_co_u32_e32 v11, vcc, 0, v5, vcc
	v_mad_u64_u32 v[4:5], s[2:3], v7, v9, 0
	v_mad_u64_u32 v[8:9], s[2:3], v7, v8, 0
	v_add_co_u32_e32 v8, vcc, v10, v8
	v_addc_co_u32_e32 v8, vcc, v11, v9, vcc
	v_addc_co_u32_e32 v5, vcc, 0, v5, vcc
	v_add_co_u32_e32 v8, vcc, v8, v4
	v_addc_co_u32_e32 v9, vcc, 0, v5, vcc
	v_mul_lo_u32 v10, s47, v8
	v_mul_lo_u32 v11, s46, v9
	v_mad_u64_u32 v[4:5], s[2:3], s46, v8, 0
	v_add3_u32 v5, v5, v11, v10
	v_sub_u32_e32 v10, v7, v5
	v_mov_b32_e32 v11, s47
	v_sub_co_u32_e32 v4, vcc, v6, v4
	v_subb_co_u32_e64 v6, s[2:3], v10, v11, vcc
	v_subrev_co_u32_e64 v10, s[2:3], s46, v4
	v_subbrev_co_u32_e64 v6, s[2:3], 0, v6, s[2:3]
	v_cmp_le_u32_e64 s[2:3], s47, v6
	v_cndmask_b32_e64 v11, 0, -1, s[2:3]
	v_cmp_le_u32_e64 s[2:3], s46, v10
	v_cndmask_b32_e64 v10, 0, -1, s[2:3]
	v_cmp_eq_u32_e64 s[2:3], s47, v6
	v_cndmask_b32_e64 v6, v11, v10, s[2:3]
	v_add_co_u32_e64 v10, s[2:3], 2, v8
	v_subb_co_u32_e32 v5, vcc, v7, v5, vcc
	v_addc_co_u32_e64 v11, s[2:3], 0, v9, s[2:3]
	v_cmp_le_u32_e32 vcc, s47, v5
	v_add_co_u32_e64 v12, s[2:3], 1, v8
	v_cndmask_b32_e64 v7, 0, -1, vcc
	v_cmp_le_u32_e32 vcc, s46, v4
	v_addc_co_u32_e64 v13, s[2:3], 0, v9, s[2:3]
	v_cndmask_b32_e64 v4, 0, -1, vcc
	v_cmp_eq_u32_e32 vcc, s47, v5
	v_cmp_ne_u32_e64 s[2:3], 0, v6
	v_cndmask_b32_e32 v4, v7, v4, vcc
	v_cndmask_b32_e64 v6, v13, v11, s[2:3]
	v_cmp_ne_u32_e32 vcc, 0, v4
	v_cndmask_b32_e64 v4, v12, v10, s[2:3]
	v_cndmask_b32_e32 v5, v9, v6, vcc
	v_cndmask_b32_e32 v4, v8, v4, vcc
                                        ; implicit-def: $vgpr6
.LBB6_147:
	s_andn2_saveexec_b64 s[2:3], s[8:9]
	s_cbranch_execz .LBB6_149
; %bb.148:
	v_cvt_f32_u32_e32 v4, s46
	s_sub_i32 s8, 0, s46
	v_rcp_iflag_f32_e32 v4, v4
	v_mul_f32_e32 v4, 0x4f7ffffe, v4
	v_cvt_u32_f32_e32 v4, v4
	v_mul_lo_u32 v5, s8, v4
	v_mul_hi_u32 v5, v4, v5
	v_add_u32_e32 v4, v4, v5
	v_mul_hi_u32 v4, v6, v4
	v_mul_lo_u32 v5, v4, s46
	v_sub_u32_e32 v5, v6, v5
	v_add_u32_e32 v7, 1, v4
	v_subrev_u32_e32 v6, s46, v5
	v_cmp_le_u32_e32 vcc, s46, v5
	v_cndmask_b32_e32 v5, v5, v6, vcc
	v_cndmask_b32_e32 v4, v4, v7, vcc
	v_add_u32_e32 v6, 1, v4
	v_cmp_le_u32_e32 vcc, s46, v5
	v_cndmask_b32_e32 v4, v4, v6, vcc
	v_mov_b32_e32 v5, 0
.LBB6_149:
	s_or_b64 exec, exec, s[2:3]
	v_add_co_u32_e32 v8, vcc, 0x200, v28
	v_addc_co_u32_e32 v9, vcc, 0, v1, vcc
	v_or_b32_e32 v7, s47, v9
	v_mov_b32_e32 v6, 0
	v_cmp_ne_u64_e32 vcc, 0, v[6:7]
                                        ; implicit-def: $vgpr6_vgpr7
	s_and_saveexec_b64 s[2:3], vcc
	s_xor_b64 s[8:9], exec, s[2:3]
	s_cbranch_execz .LBB6_151
; %bb.150:
	v_cvt_f32_u32_e32 v6, s46
	v_cvt_f32_u32_e32 v7, s47
	s_sub_u32 s2, 0, s46
	s_subb_u32 s3, 0, s47
	v_madmk_f32 v6, v7, 0x4f800000, v6
	v_rcp_f32_e32 v6, v6
	v_mul_f32_e32 v6, 0x5f7ffffc, v6
	v_mul_f32_e32 v7, 0x2f800000, v6
	v_trunc_f32_e32 v7, v7
	v_madmk_f32 v6, v7, 0xcf800000, v6
	v_cvt_u32_f32_e32 v7, v7
	v_cvt_u32_f32_e32 v6, v6
	v_mul_lo_u32 v10, s2, v7
	v_mul_hi_u32 v12, s2, v6
	v_mul_lo_u32 v11, s3, v6
	v_add_u32_e32 v10, v12, v10
	v_mul_lo_u32 v13, s2, v6
	v_add_u32_e32 v10, v10, v11
	v_mul_hi_u32 v12, v6, v13
	v_mul_lo_u32 v14, v6, v10
	v_mul_hi_u32 v11, v6, v10
	v_add_co_u32_e32 v12, vcc, v12, v14
	v_addc_co_u32_e32 v11, vcc, 0, v11, vcc
	v_mul_hi_u32 v15, v7, v13
	v_mul_lo_u32 v13, v7, v13
	v_add_co_u32_e32 v12, vcc, v12, v13
	v_mul_hi_u32 v14, v7, v10
	v_addc_co_u32_e32 v11, vcc, v11, v15, vcc
	v_addc_co_u32_e32 v12, vcc, 0, v14, vcc
	v_mul_lo_u32 v10, v7, v10
	v_add_co_u32_e32 v10, vcc, v11, v10
	v_addc_co_u32_e32 v11, vcc, 0, v12, vcc
	v_add_co_u32_e32 v6, vcc, v6, v10
	v_addc_co_u32_e32 v7, vcc, v7, v11, vcc
	v_mul_lo_u32 v10, s2, v7
	v_mul_hi_u32 v11, s2, v6
	v_add_u32_e32 v10, v11, v10
	v_mul_lo_u32 v11, s3, v6
	v_add_u32_e32 v10, v10, v11
	v_mul_lo_u32 v12, s2, v6
	v_mul_hi_u32 v13, v7, v12
	v_mul_lo_u32 v14, v7, v12
	v_mul_lo_u32 v16, v6, v10
	v_mul_hi_u32 v12, v6, v12
	v_mul_hi_u32 v15, v6, v10
	v_add_co_u32_e32 v12, vcc, v12, v16
	v_addc_co_u32_e32 v15, vcc, 0, v15, vcc
	v_add_co_u32_e32 v12, vcc, v12, v14
	v_mul_hi_u32 v11, v7, v10
	v_addc_co_u32_e32 v12, vcc, v15, v13, vcc
	v_addc_co_u32_e32 v11, vcc, 0, v11, vcc
	v_mul_lo_u32 v10, v7, v10
	v_add_co_u32_e32 v10, vcc, v12, v10
	v_addc_co_u32_e32 v11, vcc, 0, v11, vcc
	v_add_co_u32_e32 v10, vcc, v6, v10
	v_addc_co_u32_e32 v11, vcc, v7, v11, vcc
	v_mad_u64_u32 v[6:7], s[2:3], v8, v11, 0
	v_mul_hi_u32 v12, v8, v10
	v_add_co_u32_e32 v12, vcc, v12, v6
	v_addc_co_u32_e32 v13, vcc, 0, v7, vcc
	v_mad_u64_u32 v[6:7], s[2:3], v9, v11, 0
	v_mad_u64_u32 v[10:11], s[2:3], v9, v10, 0
	v_add_co_u32_e32 v10, vcc, v12, v10
	v_addc_co_u32_e32 v10, vcc, v13, v11, vcc
	v_addc_co_u32_e32 v7, vcc, 0, v7, vcc
	v_add_co_u32_e32 v10, vcc, v10, v6
	v_addc_co_u32_e32 v11, vcc, 0, v7, vcc
	v_mul_lo_u32 v12, s47, v10
	v_mul_lo_u32 v13, s46, v11
	v_mad_u64_u32 v[6:7], s[2:3], s46, v10, 0
	v_add3_u32 v7, v7, v13, v12
	v_sub_u32_e32 v12, v9, v7
	v_mov_b32_e32 v13, s47
	v_sub_co_u32_e32 v6, vcc, v8, v6
	v_subb_co_u32_e64 v8, s[2:3], v12, v13, vcc
	v_subrev_co_u32_e64 v12, s[2:3], s46, v6
	v_subbrev_co_u32_e64 v8, s[2:3], 0, v8, s[2:3]
	v_cmp_le_u32_e64 s[2:3], s47, v8
	v_cndmask_b32_e64 v13, 0, -1, s[2:3]
	v_cmp_le_u32_e64 s[2:3], s46, v12
	v_cndmask_b32_e64 v12, 0, -1, s[2:3]
	v_cmp_eq_u32_e64 s[2:3], s47, v8
	v_cndmask_b32_e64 v8, v13, v12, s[2:3]
	v_add_co_u32_e64 v12, s[2:3], 2, v10
	v_subb_co_u32_e32 v7, vcc, v9, v7, vcc
	v_addc_co_u32_e64 v13, s[2:3], 0, v11, s[2:3]
	v_cmp_le_u32_e32 vcc, s47, v7
	v_add_co_u32_e64 v14, s[2:3], 1, v10
	v_cndmask_b32_e64 v9, 0, -1, vcc
	v_cmp_le_u32_e32 vcc, s46, v6
	v_addc_co_u32_e64 v15, s[2:3], 0, v11, s[2:3]
	v_cndmask_b32_e64 v6, 0, -1, vcc
	v_cmp_eq_u32_e32 vcc, s47, v7
	v_cmp_ne_u32_e64 s[2:3], 0, v8
	v_cndmask_b32_e32 v6, v9, v6, vcc
	v_cndmask_b32_e64 v8, v15, v13, s[2:3]
	v_cmp_ne_u32_e32 vcc, 0, v6
	v_cndmask_b32_e64 v6, v14, v12, s[2:3]
	v_cndmask_b32_e32 v7, v11, v8, vcc
	v_cndmask_b32_e32 v6, v10, v6, vcc
                                        ; implicit-def: $vgpr8
.LBB6_151:
	s_andn2_saveexec_b64 s[2:3], s[8:9]
	s_cbranch_execz .LBB6_153
; %bb.152:
	v_cvt_f32_u32_e32 v6, s46
	s_sub_i32 s8, 0, s46
	v_rcp_iflag_f32_e32 v6, v6
	v_mul_f32_e32 v6, 0x4f7ffffe, v6
	v_cvt_u32_f32_e32 v6, v6
	v_mul_lo_u32 v7, s8, v6
	v_mul_hi_u32 v7, v6, v7
	v_add_u32_e32 v6, v6, v7
	v_mul_hi_u32 v6, v8, v6
	v_mul_lo_u32 v7, v6, s46
	v_sub_u32_e32 v7, v8, v7
	v_add_u32_e32 v9, 1, v6
	v_subrev_u32_e32 v8, s46, v7
	v_cmp_le_u32_e32 vcc, s46, v7
	v_cndmask_b32_e32 v7, v7, v8, vcc
	v_cndmask_b32_e32 v6, v6, v9, vcc
	v_add_u32_e32 v8, 1, v6
	v_cmp_le_u32_e32 vcc, s46, v7
	v_cndmask_b32_e32 v6, v6, v8, vcc
	v_mov_b32_e32 v7, 0
.LBB6_153:
	s_or_b64 exec, exec, s[2:3]
	v_add_co_u32_e32 v10, vcc, 0x300, v28
	v_addc_co_u32_e32 v11, vcc, 0, v1, vcc
	v_or_b32_e32 v9, s47, v11
	v_mov_b32_e32 v8, 0
	v_cmp_ne_u64_e32 vcc, 0, v[8:9]
                                        ; implicit-def: $vgpr8_vgpr9
	s_and_saveexec_b64 s[2:3], vcc
	s_xor_b64 s[8:9], exec, s[2:3]
	s_cbranch_execz .LBB6_155
; %bb.154:
	v_cvt_f32_u32_e32 v8, s46
	v_cvt_f32_u32_e32 v9, s47
	s_sub_u32 s2, 0, s46
	s_subb_u32 s3, 0, s47
	v_madmk_f32 v8, v9, 0x4f800000, v8
	v_rcp_f32_e32 v8, v8
	v_mul_f32_e32 v8, 0x5f7ffffc, v8
	v_mul_f32_e32 v9, 0x2f800000, v8
	v_trunc_f32_e32 v9, v9
	v_madmk_f32 v8, v9, 0xcf800000, v8
	v_cvt_u32_f32_e32 v9, v9
	v_cvt_u32_f32_e32 v8, v8
	v_mul_lo_u32 v12, s2, v9
	v_mul_hi_u32 v14, s2, v8
	v_mul_lo_u32 v13, s3, v8
	v_add_u32_e32 v12, v14, v12
	v_mul_lo_u32 v15, s2, v8
	v_add_u32_e32 v12, v12, v13
	v_mul_hi_u32 v14, v8, v15
	v_mul_lo_u32 v16, v8, v12
	v_mul_hi_u32 v13, v8, v12
	v_add_co_u32_e32 v14, vcc, v14, v16
	v_addc_co_u32_e32 v13, vcc, 0, v13, vcc
	v_mul_hi_u32 v17, v9, v15
	v_mul_lo_u32 v15, v9, v15
	v_add_co_u32_e32 v14, vcc, v14, v15
	v_mul_hi_u32 v16, v9, v12
	v_addc_co_u32_e32 v13, vcc, v13, v17, vcc
	v_addc_co_u32_e32 v14, vcc, 0, v16, vcc
	v_mul_lo_u32 v12, v9, v12
	v_add_co_u32_e32 v12, vcc, v13, v12
	v_addc_co_u32_e32 v13, vcc, 0, v14, vcc
	v_add_co_u32_e32 v8, vcc, v8, v12
	v_addc_co_u32_e32 v9, vcc, v9, v13, vcc
	v_mul_lo_u32 v12, s2, v9
	v_mul_hi_u32 v13, s2, v8
	v_add_u32_e32 v12, v13, v12
	v_mul_lo_u32 v13, s3, v8
	v_add_u32_e32 v12, v12, v13
	v_mul_lo_u32 v14, s2, v8
	v_mul_hi_u32 v15, v9, v14
	v_mul_lo_u32 v16, v9, v14
	v_mul_lo_u32 v18, v8, v12
	v_mul_hi_u32 v14, v8, v14
	v_mul_hi_u32 v17, v8, v12
	v_add_co_u32_e32 v14, vcc, v14, v18
	v_addc_co_u32_e32 v17, vcc, 0, v17, vcc
	v_add_co_u32_e32 v14, vcc, v14, v16
	v_mul_hi_u32 v13, v9, v12
	v_addc_co_u32_e32 v14, vcc, v17, v15, vcc
	v_addc_co_u32_e32 v13, vcc, 0, v13, vcc
	v_mul_lo_u32 v12, v9, v12
	v_add_co_u32_e32 v12, vcc, v14, v12
	v_addc_co_u32_e32 v13, vcc, 0, v13, vcc
	v_add_co_u32_e32 v12, vcc, v8, v12
	v_addc_co_u32_e32 v13, vcc, v9, v13, vcc
	v_mad_u64_u32 v[8:9], s[2:3], v10, v13, 0
	v_mul_hi_u32 v14, v10, v12
	v_add_co_u32_e32 v14, vcc, v14, v8
	v_addc_co_u32_e32 v15, vcc, 0, v9, vcc
	v_mad_u64_u32 v[8:9], s[2:3], v11, v13, 0
	v_mad_u64_u32 v[12:13], s[2:3], v11, v12, 0
	v_add_co_u32_e32 v12, vcc, v14, v12
	v_addc_co_u32_e32 v12, vcc, v15, v13, vcc
	v_addc_co_u32_e32 v9, vcc, 0, v9, vcc
	v_add_co_u32_e32 v12, vcc, v12, v8
	v_addc_co_u32_e32 v13, vcc, 0, v9, vcc
	v_mul_lo_u32 v14, s47, v12
	v_mul_lo_u32 v15, s46, v13
	v_mad_u64_u32 v[8:9], s[2:3], s46, v12, 0
	v_add3_u32 v9, v9, v15, v14
	v_sub_u32_e32 v14, v11, v9
	v_mov_b32_e32 v15, s47
	v_sub_co_u32_e32 v8, vcc, v10, v8
	v_subb_co_u32_e64 v10, s[2:3], v14, v15, vcc
	v_subrev_co_u32_e64 v14, s[2:3], s46, v8
	v_subbrev_co_u32_e64 v10, s[2:3], 0, v10, s[2:3]
	v_cmp_le_u32_e64 s[2:3], s47, v10
	v_cndmask_b32_e64 v15, 0, -1, s[2:3]
	v_cmp_le_u32_e64 s[2:3], s46, v14
	v_cndmask_b32_e64 v14, 0, -1, s[2:3]
	v_cmp_eq_u32_e64 s[2:3], s47, v10
	v_cndmask_b32_e64 v10, v15, v14, s[2:3]
	v_add_co_u32_e64 v14, s[2:3], 2, v12
	v_subb_co_u32_e32 v9, vcc, v11, v9, vcc
	v_addc_co_u32_e64 v15, s[2:3], 0, v13, s[2:3]
	v_cmp_le_u32_e32 vcc, s47, v9
	v_add_co_u32_e64 v16, s[2:3], 1, v12
	v_cndmask_b32_e64 v11, 0, -1, vcc
	v_cmp_le_u32_e32 vcc, s46, v8
	v_addc_co_u32_e64 v17, s[2:3], 0, v13, s[2:3]
	v_cndmask_b32_e64 v8, 0, -1, vcc
	v_cmp_eq_u32_e32 vcc, s47, v9
	v_cmp_ne_u32_e64 s[2:3], 0, v10
	v_cndmask_b32_e32 v8, v11, v8, vcc
	v_cndmask_b32_e64 v10, v17, v15, s[2:3]
	v_cmp_ne_u32_e32 vcc, 0, v8
	v_cndmask_b32_e64 v8, v16, v14, s[2:3]
	v_cndmask_b32_e32 v9, v13, v10, vcc
	v_cndmask_b32_e32 v8, v12, v8, vcc
                                        ; implicit-def: $vgpr10
.LBB6_155:
	s_andn2_saveexec_b64 s[2:3], s[8:9]
	s_cbranch_execz .LBB6_157
; %bb.156:
	v_cvt_f32_u32_e32 v8, s46
	s_sub_i32 s8, 0, s46
	v_rcp_iflag_f32_e32 v8, v8
	v_mul_f32_e32 v8, 0x4f7ffffe, v8
	v_cvt_u32_f32_e32 v8, v8
	v_mul_lo_u32 v9, s8, v8
	v_mul_hi_u32 v9, v8, v9
	v_add_u32_e32 v8, v8, v9
	v_mul_hi_u32 v8, v10, v8
	v_mul_lo_u32 v9, v8, s46
	v_sub_u32_e32 v9, v10, v9
	v_add_u32_e32 v11, 1, v8
	v_subrev_u32_e32 v10, s46, v9
	v_cmp_le_u32_e32 vcc, s46, v9
	v_cndmask_b32_e32 v9, v9, v10, vcc
	v_cndmask_b32_e32 v8, v8, v11, vcc
	v_add_u32_e32 v10, 1, v8
	v_cmp_le_u32_e32 vcc, s46, v9
	v_cndmask_b32_e32 v8, v8, v10, vcc
	v_mov_b32_e32 v9, 0
.LBB6_157:
	s_or_b64 exec, exec, s[2:3]
	v_add_co_u32_e32 v12, vcc, 0x400, v28
	v_addc_co_u32_e32 v13, vcc, 0, v1, vcc
	v_or_b32_e32 v11, s47, v13
	v_mov_b32_e32 v10, 0
	v_cmp_ne_u64_e32 vcc, 0, v[10:11]
                                        ; implicit-def: $vgpr10_vgpr11
	s_and_saveexec_b64 s[2:3], vcc
	s_xor_b64 s[8:9], exec, s[2:3]
	s_cbranch_execz .LBB6_159
; %bb.158:
	v_cvt_f32_u32_e32 v10, s46
	v_cvt_f32_u32_e32 v11, s47
	s_sub_u32 s2, 0, s46
	s_subb_u32 s3, 0, s47
	v_madmk_f32 v10, v11, 0x4f800000, v10
	v_rcp_f32_e32 v10, v10
	v_mul_f32_e32 v10, 0x5f7ffffc, v10
	v_mul_f32_e32 v11, 0x2f800000, v10
	v_trunc_f32_e32 v11, v11
	v_madmk_f32 v10, v11, 0xcf800000, v10
	v_cvt_u32_f32_e32 v11, v11
	v_cvt_u32_f32_e32 v10, v10
	v_mul_lo_u32 v14, s2, v11
	v_mul_hi_u32 v16, s2, v10
	v_mul_lo_u32 v15, s3, v10
	v_add_u32_e32 v14, v16, v14
	v_mul_lo_u32 v17, s2, v10
	v_add_u32_e32 v14, v14, v15
	v_mul_hi_u32 v16, v10, v17
	v_mul_lo_u32 v18, v10, v14
	v_mul_hi_u32 v15, v10, v14
	v_add_co_u32_e32 v16, vcc, v16, v18
	v_addc_co_u32_e32 v15, vcc, 0, v15, vcc
	v_mul_hi_u32 v19, v11, v17
	v_mul_lo_u32 v17, v11, v17
	v_add_co_u32_e32 v16, vcc, v16, v17
	v_mul_hi_u32 v18, v11, v14
	v_addc_co_u32_e32 v15, vcc, v15, v19, vcc
	v_addc_co_u32_e32 v16, vcc, 0, v18, vcc
	v_mul_lo_u32 v14, v11, v14
	v_add_co_u32_e32 v14, vcc, v15, v14
	v_addc_co_u32_e32 v15, vcc, 0, v16, vcc
	v_add_co_u32_e32 v10, vcc, v10, v14
	v_addc_co_u32_e32 v11, vcc, v11, v15, vcc
	v_mul_lo_u32 v14, s2, v11
	v_mul_hi_u32 v15, s2, v10
	v_add_u32_e32 v14, v15, v14
	v_mul_lo_u32 v15, s3, v10
	v_add_u32_e32 v14, v14, v15
	v_mul_lo_u32 v16, s2, v10
	v_mul_hi_u32 v17, v11, v16
	v_mul_lo_u32 v18, v11, v16
	v_mul_lo_u32 v20, v10, v14
	v_mul_hi_u32 v16, v10, v16
	v_mul_hi_u32 v19, v10, v14
	v_add_co_u32_e32 v16, vcc, v16, v20
	v_addc_co_u32_e32 v19, vcc, 0, v19, vcc
	v_add_co_u32_e32 v16, vcc, v16, v18
	v_mul_hi_u32 v15, v11, v14
	v_addc_co_u32_e32 v16, vcc, v19, v17, vcc
	v_addc_co_u32_e32 v15, vcc, 0, v15, vcc
	v_mul_lo_u32 v14, v11, v14
	v_add_co_u32_e32 v14, vcc, v16, v14
	v_addc_co_u32_e32 v15, vcc, 0, v15, vcc
	v_add_co_u32_e32 v14, vcc, v10, v14
	v_addc_co_u32_e32 v15, vcc, v11, v15, vcc
	v_mad_u64_u32 v[10:11], s[2:3], v12, v15, 0
	v_mul_hi_u32 v16, v12, v14
	v_add_co_u32_e32 v16, vcc, v16, v10
	v_addc_co_u32_e32 v17, vcc, 0, v11, vcc
	v_mad_u64_u32 v[10:11], s[2:3], v13, v15, 0
	v_mad_u64_u32 v[14:15], s[2:3], v13, v14, 0
	v_add_co_u32_e32 v14, vcc, v16, v14
	v_addc_co_u32_e32 v14, vcc, v17, v15, vcc
	v_addc_co_u32_e32 v11, vcc, 0, v11, vcc
	v_add_co_u32_e32 v14, vcc, v14, v10
	v_addc_co_u32_e32 v15, vcc, 0, v11, vcc
	v_mul_lo_u32 v16, s47, v14
	v_mul_lo_u32 v17, s46, v15
	v_mad_u64_u32 v[10:11], s[2:3], s46, v14, 0
	v_add3_u32 v11, v11, v17, v16
	v_sub_u32_e32 v16, v13, v11
	v_mov_b32_e32 v17, s47
	v_sub_co_u32_e32 v10, vcc, v12, v10
	v_subb_co_u32_e64 v12, s[2:3], v16, v17, vcc
	v_subrev_co_u32_e64 v16, s[2:3], s46, v10
	v_subbrev_co_u32_e64 v12, s[2:3], 0, v12, s[2:3]
	v_cmp_le_u32_e64 s[2:3], s47, v12
	v_cndmask_b32_e64 v17, 0, -1, s[2:3]
	v_cmp_le_u32_e64 s[2:3], s46, v16
	v_cndmask_b32_e64 v16, 0, -1, s[2:3]
	v_cmp_eq_u32_e64 s[2:3], s47, v12
	v_cndmask_b32_e64 v12, v17, v16, s[2:3]
	v_add_co_u32_e64 v16, s[2:3], 2, v14
	v_subb_co_u32_e32 v11, vcc, v13, v11, vcc
	v_addc_co_u32_e64 v17, s[2:3], 0, v15, s[2:3]
	v_cmp_le_u32_e32 vcc, s47, v11
	v_add_co_u32_e64 v18, s[2:3], 1, v14
	v_cndmask_b32_e64 v13, 0, -1, vcc
	v_cmp_le_u32_e32 vcc, s46, v10
	v_addc_co_u32_e64 v19, s[2:3], 0, v15, s[2:3]
	v_cndmask_b32_e64 v10, 0, -1, vcc
	v_cmp_eq_u32_e32 vcc, s47, v11
	v_cmp_ne_u32_e64 s[2:3], 0, v12
	v_cndmask_b32_e32 v10, v13, v10, vcc
	v_cndmask_b32_e64 v12, v19, v17, s[2:3]
	v_cmp_ne_u32_e32 vcc, 0, v10
	v_cndmask_b32_e64 v10, v18, v16, s[2:3]
	v_cndmask_b32_e32 v11, v15, v12, vcc
	v_cndmask_b32_e32 v10, v14, v10, vcc
                                        ; implicit-def: $vgpr12
.LBB6_159:
	s_andn2_saveexec_b64 s[2:3], s[8:9]
	s_cbranch_execz .LBB6_161
; %bb.160:
	v_cvt_f32_u32_e32 v10, s46
	s_sub_i32 s8, 0, s46
	v_rcp_iflag_f32_e32 v10, v10
	v_mul_f32_e32 v10, 0x4f7ffffe, v10
	v_cvt_u32_f32_e32 v10, v10
	v_mul_lo_u32 v11, s8, v10
	v_mul_hi_u32 v11, v10, v11
	v_add_u32_e32 v10, v10, v11
	v_mul_hi_u32 v10, v12, v10
	v_mul_lo_u32 v11, v10, s46
	v_sub_u32_e32 v11, v12, v11
	v_add_u32_e32 v13, 1, v10
	v_subrev_u32_e32 v12, s46, v11
	v_cmp_le_u32_e32 vcc, s46, v11
	v_cndmask_b32_e32 v11, v11, v12, vcc
	v_cndmask_b32_e32 v10, v10, v13, vcc
	v_add_u32_e32 v12, 1, v10
	v_cmp_le_u32_e32 vcc, s46, v11
	v_cndmask_b32_e32 v10, v10, v12, vcc
	v_mov_b32_e32 v11, 0
.LBB6_161:
	s_or_b64 exec, exec, s[2:3]
	v_add_co_u32_e32 v14, vcc, 0x500, v28
	v_addc_co_u32_e32 v15, vcc, 0, v1, vcc
	v_or_b32_e32 v13, s47, v15
	v_mov_b32_e32 v12, 0
	v_cmp_ne_u64_e32 vcc, 0, v[12:13]
                                        ; implicit-def: $vgpr12_vgpr13
	s_and_saveexec_b64 s[2:3], vcc
	s_xor_b64 s[8:9], exec, s[2:3]
	s_cbranch_execz .LBB6_163
; %bb.162:
	v_cvt_f32_u32_e32 v12, s46
	v_cvt_f32_u32_e32 v13, s47
	s_sub_u32 s2, 0, s46
	s_subb_u32 s3, 0, s47
	v_madmk_f32 v12, v13, 0x4f800000, v12
	v_rcp_f32_e32 v12, v12
	v_mul_f32_e32 v12, 0x5f7ffffc, v12
	v_mul_f32_e32 v13, 0x2f800000, v12
	v_trunc_f32_e32 v13, v13
	v_madmk_f32 v12, v13, 0xcf800000, v12
	v_cvt_u32_f32_e32 v13, v13
	v_cvt_u32_f32_e32 v12, v12
	v_mul_lo_u32 v16, s2, v13
	v_mul_hi_u32 v18, s2, v12
	v_mul_lo_u32 v17, s3, v12
	v_add_u32_e32 v16, v18, v16
	v_mul_lo_u32 v19, s2, v12
	v_add_u32_e32 v16, v16, v17
	v_mul_hi_u32 v18, v12, v19
	v_mul_lo_u32 v20, v12, v16
	v_mul_hi_u32 v17, v12, v16
	v_add_co_u32_e32 v18, vcc, v18, v20
	v_addc_co_u32_e32 v17, vcc, 0, v17, vcc
	v_mul_hi_u32 v21, v13, v19
	v_mul_lo_u32 v19, v13, v19
	v_add_co_u32_e32 v18, vcc, v18, v19
	v_mul_hi_u32 v20, v13, v16
	v_addc_co_u32_e32 v17, vcc, v17, v21, vcc
	v_addc_co_u32_e32 v18, vcc, 0, v20, vcc
	v_mul_lo_u32 v16, v13, v16
	v_add_co_u32_e32 v16, vcc, v17, v16
	v_addc_co_u32_e32 v17, vcc, 0, v18, vcc
	v_add_co_u32_e32 v12, vcc, v12, v16
	v_addc_co_u32_e32 v13, vcc, v13, v17, vcc
	v_mul_lo_u32 v16, s2, v13
	v_mul_hi_u32 v17, s2, v12
	v_add_u32_e32 v16, v17, v16
	v_mul_lo_u32 v17, s3, v12
	v_add_u32_e32 v16, v16, v17
	v_mul_lo_u32 v18, s2, v12
	v_mul_hi_u32 v19, v13, v18
	v_mul_lo_u32 v20, v13, v18
	v_mul_lo_u32 v22, v12, v16
	v_mul_hi_u32 v18, v12, v18
	v_mul_hi_u32 v21, v12, v16
	v_add_co_u32_e32 v18, vcc, v18, v22
	v_addc_co_u32_e32 v21, vcc, 0, v21, vcc
	v_add_co_u32_e32 v18, vcc, v18, v20
	v_mul_hi_u32 v17, v13, v16
	v_addc_co_u32_e32 v18, vcc, v21, v19, vcc
	v_addc_co_u32_e32 v17, vcc, 0, v17, vcc
	v_mul_lo_u32 v16, v13, v16
	v_add_co_u32_e32 v16, vcc, v18, v16
	v_addc_co_u32_e32 v17, vcc, 0, v17, vcc
	v_add_co_u32_e32 v16, vcc, v12, v16
	v_addc_co_u32_e32 v17, vcc, v13, v17, vcc
	v_mad_u64_u32 v[12:13], s[2:3], v14, v17, 0
	v_mul_hi_u32 v18, v14, v16
	v_add_co_u32_e32 v18, vcc, v18, v12
	v_addc_co_u32_e32 v19, vcc, 0, v13, vcc
	v_mad_u64_u32 v[12:13], s[2:3], v15, v17, 0
	v_mad_u64_u32 v[16:17], s[2:3], v15, v16, 0
	v_add_co_u32_e32 v16, vcc, v18, v16
	v_addc_co_u32_e32 v16, vcc, v19, v17, vcc
	v_addc_co_u32_e32 v13, vcc, 0, v13, vcc
	v_add_co_u32_e32 v16, vcc, v16, v12
	v_addc_co_u32_e32 v17, vcc, 0, v13, vcc
	v_mul_lo_u32 v18, s47, v16
	v_mul_lo_u32 v19, s46, v17
	v_mad_u64_u32 v[12:13], s[2:3], s46, v16, 0
	v_add3_u32 v13, v13, v19, v18
	v_sub_u32_e32 v18, v15, v13
	v_mov_b32_e32 v19, s47
	v_sub_co_u32_e32 v12, vcc, v14, v12
	v_subb_co_u32_e64 v14, s[2:3], v18, v19, vcc
	v_subrev_co_u32_e64 v18, s[2:3], s46, v12
	v_subbrev_co_u32_e64 v14, s[2:3], 0, v14, s[2:3]
	v_cmp_le_u32_e64 s[2:3], s47, v14
	v_cndmask_b32_e64 v19, 0, -1, s[2:3]
	v_cmp_le_u32_e64 s[2:3], s46, v18
	v_cndmask_b32_e64 v18, 0, -1, s[2:3]
	v_cmp_eq_u32_e64 s[2:3], s47, v14
	v_cndmask_b32_e64 v14, v19, v18, s[2:3]
	v_add_co_u32_e64 v18, s[2:3], 2, v16
	v_subb_co_u32_e32 v13, vcc, v15, v13, vcc
	v_addc_co_u32_e64 v19, s[2:3], 0, v17, s[2:3]
	v_cmp_le_u32_e32 vcc, s47, v13
	v_add_co_u32_e64 v20, s[2:3], 1, v16
	v_cndmask_b32_e64 v15, 0, -1, vcc
	v_cmp_le_u32_e32 vcc, s46, v12
	v_addc_co_u32_e64 v21, s[2:3], 0, v17, s[2:3]
	v_cndmask_b32_e64 v12, 0, -1, vcc
	v_cmp_eq_u32_e32 vcc, s47, v13
	v_cmp_ne_u32_e64 s[2:3], 0, v14
	v_cndmask_b32_e32 v12, v15, v12, vcc
	v_cndmask_b32_e64 v14, v21, v19, s[2:3]
	v_cmp_ne_u32_e32 vcc, 0, v12
	v_cndmask_b32_e64 v12, v20, v18, s[2:3]
	v_cndmask_b32_e32 v13, v17, v14, vcc
	v_cndmask_b32_e32 v12, v16, v12, vcc
                                        ; implicit-def: $vgpr14
.LBB6_163:
	s_andn2_saveexec_b64 s[2:3], s[8:9]
	s_cbranch_execz .LBB6_165
; %bb.164:
	v_cvt_f32_u32_e32 v12, s46
	s_sub_i32 s8, 0, s46
	v_rcp_iflag_f32_e32 v12, v12
	v_mul_f32_e32 v12, 0x4f7ffffe, v12
	v_cvt_u32_f32_e32 v12, v12
	v_mul_lo_u32 v13, s8, v12
	v_mul_hi_u32 v13, v12, v13
	v_add_u32_e32 v12, v12, v13
	v_mul_hi_u32 v12, v14, v12
	v_mul_lo_u32 v13, v12, s46
	v_sub_u32_e32 v13, v14, v13
	v_add_u32_e32 v15, 1, v12
	v_subrev_u32_e32 v14, s46, v13
	v_cmp_le_u32_e32 vcc, s46, v13
	v_cndmask_b32_e32 v13, v13, v14, vcc
	v_cndmask_b32_e32 v12, v12, v15, vcc
	v_add_u32_e32 v14, 1, v12
	v_cmp_le_u32_e32 vcc, s46, v13
	v_cndmask_b32_e32 v12, v12, v14, vcc
	v_mov_b32_e32 v13, 0
.LBB6_165:
	s_or_b64 exec, exec, s[2:3]
	v_add_co_u32_e32 v16, vcc, 0x600, v28
	v_addc_co_u32_e32 v17, vcc, 0, v1, vcc
	v_or_b32_e32 v15, s47, v17
	v_mov_b32_e32 v14, 0
	v_cmp_ne_u64_e32 vcc, 0, v[14:15]
                                        ; implicit-def: $vgpr14_vgpr15
	s_and_saveexec_b64 s[2:3], vcc
	s_xor_b64 s[8:9], exec, s[2:3]
	s_cbranch_execz .LBB6_167
; %bb.166:
	v_cvt_f32_u32_e32 v14, s46
	v_cvt_f32_u32_e32 v15, s47
	s_sub_u32 s2, 0, s46
	s_subb_u32 s3, 0, s47
	v_madmk_f32 v14, v15, 0x4f800000, v14
	v_rcp_f32_e32 v14, v14
	v_mul_f32_e32 v14, 0x5f7ffffc, v14
	v_mul_f32_e32 v15, 0x2f800000, v14
	v_trunc_f32_e32 v15, v15
	v_madmk_f32 v14, v15, 0xcf800000, v14
	v_cvt_u32_f32_e32 v15, v15
	v_cvt_u32_f32_e32 v14, v14
	v_mul_lo_u32 v18, s2, v15
	v_mul_hi_u32 v20, s2, v14
	v_mul_lo_u32 v19, s3, v14
	v_add_u32_e32 v18, v20, v18
	v_mul_lo_u32 v21, s2, v14
	v_add_u32_e32 v18, v18, v19
	v_mul_hi_u32 v20, v14, v21
	v_mul_lo_u32 v22, v14, v18
	v_mul_hi_u32 v19, v14, v18
	v_add_co_u32_e32 v20, vcc, v20, v22
	v_addc_co_u32_e32 v19, vcc, 0, v19, vcc
	v_mul_hi_u32 v23, v15, v21
	v_mul_lo_u32 v21, v15, v21
	v_add_co_u32_e32 v20, vcc, v20, v21
	v_mul_hi_u32 v22, v15, v18
	v_addc_co_u32_e32 v19, vcc, v19, v23, vcc
	v_addc_co_u32_e32 v20, vcc, 0, v22, vcc
	v_mul_lo_u32 v18, v15, v18
	v_add_co_u32_e32 v18, vcc, v19, v18
	v_addc_co_u32_e32 v19, vcc, 0, v20, vcc
	v_add_co_u32_e32 v14, vcc, v14, v18
	v_addc_co_u32_e32 v15, vcc, v15, v19, vcc
	v_mul_lo_u32 v18, s2, v15
	v_mul_hi_u32 v19, s2, v14
	v_add_u32_e32 v18, v19, v18
	v_mul_lo_u32 v19, s3, v14
	v_add_u32_e32 v18, v18, v19
	v_mul_lo_u32 v20, s2, v14
	v_mul_hi_u32 v21, v15, v20
	v_mul_lo_u32 v22, v15, v20
	v_mul_lo_u32 v24, v14, v18
	v_mul_hi_u32 v20, v14, v20
	v_mul_hi_u32 v23, v14, v18
	v_add_co_u32_e32 v20, vcc, v20, v24
	v_addc_co_u32_e32 v23, vcc, 0, v23, vcc
	v_add_co_u32_e32 v20, vcc, v20, v22
	v_mul_hi_u32 v19, v15, v18
	v_addc_co_u32_e32 v20, vcc, v23, v21, vcc
	v_addc_co_u32_e32 v19, vcc, 0, v19, vcc
	v_mul_lo_u32 v18, v15, v18
	v_add_co_u32_e32 v18, vcc, v20, v18
	v_addc_co_u32_e32 v19, vcc, 0, v19, vcc
	v_add_co_u32_e32 v18, vcc, v14, v18
	v_addc_co_u32_e32 v19, vcc, v15, v19, vcc
	v_mad_u64_u32 v[14:15], s[2:3], v16, v19, 0
	v_mul_hi_u32 v20, v16, v18
	v_add_co_u32_e32 v20, vcc, v20, v14
	v_addc_co_u32_e32 v21, vcc, 0, v15, vcc
	v_mad_u64_u32 v[14:15], s[2:3], v17, v19, 0
	v_mad_u64_u32 v[18:19], s[2:3], v17, v18, 0
	v_add_co_u32_e32 v18, vcc, v20, v18
	v_addc_co_u32_e32 v18, vcc, v21, v19, vcc
	v_addc_co_u32_e32 v15, vcc, 0, v15, vcc
	v_add_co_u32_e32 v18, vcc, v18, v14
	v_addc_co_u32_e32 v19, vcc, 0, v15, vcc
	v_mul_lo_u32 v20, s47, v18
	v_mul_lo_u32 v21, s46, v19
	v_mad_u64_u32 v[14:15], s[2:3], s46, v18, 0
	v_add3_u32 v15, v15, v21, v20
	v_sub_u32_e32 v20, v17, v15
	v_mov_b32_e32 v21, s47
	v_sub_co_u32_e32 v14, vcc, v16, v14
	v_subb_co_u32_e64 v16, s[2:3], v20, v21, vcc
	v_subrev_co_u32_e64 v20, s[2:3], s46, v14
	v_subbrev_co_u32_e64 v16, s[2:3], 0, v16, s[2:3]
	v_cmp_le_u32_e64 s[2:3], s47, v16
	v_cndmask_b32_e64 v21, 0, -1, s[2:3]
	v_cmp_le_u32_e64 s[2:3], s46, v20
	v_cndmask_b32_e64 v20, 0, -1, s[2:3]
	v_cmp_eq_u32_e64 s[2:3], s47, v16
	v_cndmask_b32_e64 v16, v21, v20, s[2:3]
	v_add_co_u32_e64 v20, s[2:3], 2, v18
	v_subb_co_u32_e32 v15, vcc, v17, v15, vcc
	v_addc_co_u32_e64 v21, s[2:3], 0, v19, s[2:3]
	v_cmp_le_u32_e32 vcc, s47, v15
	v_add_co_u32_e64 v22, s[2:3], 1, v18
	v_cndmask_b32_e64 v17, 0, -1, vcc
	v_cmp_le_u32_e32 vcc, s46, v14
	v_addc_co_u32_e64 v23, s[2:3], 0, v19, s[2:3]
	v_cndmask_b32_e64 v14, 0, -1, vcc
	v_cmp_eq_u32_e32 vcc, s47, v15
	v_cmp_ne_u32_e64 s[2:3], 0, v16
	v_cndmask_b32_e32 v14, v17, v14, vcc
	v_cndmask_b32_e64 v16, v23, v21, s[2:3]
	v_cmp_ne_u32_e32 vcc, 0, v14
	v_cndmask_b32_e64 v14, v22, v20, s[2:3]
	v_cndmask_b32_e32 v15, v19, v16, vcc
	v_cndmask_b32_e32 v14, v18, v14, vcc
                                        ; implicit-def: $vgpr16
.LBB6_167:
	s_andn2_saveexec_b64 s[2:3], s[8:9]
	s_cbranch_execz .LBB6_169
; %bb.168:
	v_cvt_f32_u32_e32 v14, s46
	s_sub_i32 s8, 0, s46
	v_rcp_iflag_f32_e32 v14, v14
	v_mul_f32_e32 v14, 0x4f7ffffe, v14
	v_cvt_u32_f32_e32 v14, v14
	v_mul_lo_u32 v15, s8, v14
	v_mul_hi_u32 v15, v14, v15
	v_add_u32_e32 v14, v14, v15
	v_mul_hi_u32 v14, v16, v14
	v_mul_lo_u32 v15, v14, s46
	v_sub_u32_e32 v15, v16, v15
	v_add_u32_e32 v17, 1, v14
	v_subrev_u32_e32 v16, s46, v15
	v_cmp_le_u32_e32 vcc, s46, v15
	v_cndmask_b32_e32 v15, v15, v16, vcc
	v_cndmask_b32_e32 v14, v14, v17, vcc
	v_add_u32_e32 v16, 1, v14
	v_cmp_le_u32_e32 vcc, s46, v15
	v_cndmask_b32_e32 v14, v14, v16, vcc
	v_mov_b32_e32 v15, 0
.LBB6_169:
	s_or_b64 exec, exec, s[2:3]
	v_add_co_u32_e32 v18, vcc, 0x700, v28
	v_addc_co_u32_e32 v19, vcc, 0, v1, vcc
	v_or_b32_e32 v17, s47, v19
	v_mov_b32_e32 v16, 0
	v_cmp_ne_u64_e32 vcc, 0, v[16:17]
                                        ; implicit-def: $vgpr16_vgpr17
	s_and_saveexec_b64 s[2:3], vcc
	s_xor_b64 s[8:9], exec, s[2:3]
	s_cbranch_execz .LBB6_171
; %bb.170:
	v_cvt_f32_u32_e32 v16, s46
	v_cvt_f32_u32_e32 v17, s47
	s_sub_u32 s2, 0, s46
	s_subb_u32 s3, 0, s47
	v_madmk_f32 v16, v17, 0x4f800000, v16
	v_rcp_f32_e32 v16, v16
	v_mul_f32_e32 v16, 0x5f7ffffc, v16
	v_mul_f32_e32 v17, 0x2f800000, v16
	v_trunc_f32_e32 v17, v17
	v_madmk_f32 v16, v17, 0xcf800000, v16
	v_cvt_u32_f32_e32 v17, v17
	v_cvt_u32_f32_e32 v16, v16
	v_mul_lo_u32 v20, s2, v17
	v_mul_hi_u32 v22, s2, v16
	v_mul_lo_u32 v21, s3, v16
	v_add_u32_e32 v20, v22, v20
	v_mul_lo_u32 v23, s2, v16
	v_add_u32_e32 v20, v20, v21
	v_mul_hi_u32 v22, v16, v23
	v_mul_lo_u32 v24, v16, v20
	v_mul_hi_u32 v21, v16, v20
	v_add_co_u32_e32 v22, vcc, v22, v24
	v_addc_co_u32_e32 v21, vcc, 0, v21, vcc
	v_mul_hi_u32 v25, v17, v23
	v_mul_lo_u32 v23, v17, v23
	v_add_co_u32_e32 v22, vcc, v22, v23
	v_mul_hi_u32 v24, v17, v20
	v_addc_co_u32_e32 v21, vcc, v21, v25, vcc
	v_addc_co_u32_e32 v22, vcc, 0, v24, vcc
	v_mul_lo_u32 v20, v17, v20
	v_add_co_u32_e32 v20, vcc, v21, v20
	v_addc_co_u32_e32 v21, vcc, 0, v22, vcc
	v_add_co_u32_e32 v16, vcc, v16, v20
	v_addc_co_u32_e32 v17, vcc, v17, v21, vcc
	v_mul_lo_u32 v20, s2, v17
	v_mul_hi_u32 v21, s2, v16
	v_add_u32_e32 v20, v21, v20
	v_mul_lo_u32 v21, s3, v16
	v_add_u32_e32 v20, v20, v21
	v_mul_lo_u32 v22, s2, v16
	v_mul_hi_u32 v23, v17, v22
	v_mul_lo_u32 v24, v17, v22
	v_mul_lo_u32 v26, v16, v20
	v_mul_hi_u32 v22, v16, v22
	v_mul_hi_u32 v25, v16, v20
	v_add_co_u32_e32 v22, vcc, v22, v26
	v_addc_co_u32_e32 v25, vcc, 0, v25, vcc
	v_add_co_u32_e32 v22, vcc, v22, v24
	v_mul_hi_u32 v21, v17, v20
	v_addc_co_u32_e32 v22, vcc, v25, v23, vcc
	v_addc_co_u32_e32 v21, vcc, 0, v21, vcc
	v_mul_lo_u32 v20, v17, v20
	v_add_co_u32_e32 v20, vcc, v22, v20
	v_addc_co_u32_e32 v21, vcc, 0, v21, vcc
	v_add_co_u32_e32 v20, vcc, v16, v20
	v_addc_co_u32_e32 v21, vcc, v17, v21, vcc
	v_mad_u64_u32 v[16:17], s[2:3], v18, v21, 0
	v_mul_hi_u32 v22, v18, v20
	v_add_co_u32_e32 v22, vcc, v22, v16
	v_addc_co_u32_e32 v23, vcc, 0, v17, vcc
	v_mad_u64_u32 v[16:17], s[2:3], v19, v21, 0
	v_mad_u64_u32 v[20:21], s[2:3], v19, v20, 0
	v_add_co_u32_e32 v20, vcc, v22, v20
	v_addc_co_u32_e32 v20, vcc, v23, v21, vcc
	v_addc_co_u32_e32 v17, vcc, 0, v17, vcc
	v_add_co_u32_e32 v20, vcc, v20, v16
	v_addc_co_u32_e32 v21, vcc, 0, v17, vcc
	v_mul_lo_u32 v22, s47, v20
	v_mul_lo_u32 v23, s46, v21
	v_mad_u64_u32 v[16:17], s[2:3], s46, v20, 0
	v_add3_u32 v17, v17, v23, v22
	v_sub_u32_e32 v22, v19, v17
	v_mov_b32_e32 v23, s47
	v_sub_co_u32_e32 v16, vcc, v18, v16
	v_subb_co_u32_e64 v18, s[2:3], v22, v23, vcc
	v_subrev_co_u32_e64 v22, s[2:3], s46, v16
	v_subbrev_co_u32_e64 v18, s[2:3], 0, v18, s[2:3]
	v_cmp_le_u32_e64 s[2:3], s47, v18
	v_cndmask_b32_e64 v23, 0, -1, s[2:3]
	v_cmp_le_u32_e64 s[2:3], s46, v22
	v_cndmask_b32_e64 v22, 0, -1, s[2:3]
	v_cmp_eq_u32_e64 s[2:3], s47, v18
	v_cndmask_b32_e64 v18, v23, v22, s[2:3]
	v_add_co_u32_e64 v22, s[2:3], 2, v20
	v_subb_co_u32_e32 v17, vcc, v19, v17, vcc
	v_addc_co_u32_e64 v23, s[2:3], 0, v21, s[2:3]
	v_cmp_le_u32_e32 vcc, s47, v17
	v_add_co_u32_e64 v24, s[2:3], 1, v20
	v_cndmask_b32_e64 v19, 0, -1, vcc
	v_cmp_le_u32_e32 vcc, s46, v16
	v_addc_co_u32_e64 v25, s[2:3], 0, v21, s[2:3]
	v_cndmask_b32_e64 v16, 0, -1, vcc
	v_cmp_eq_u32_e32 vcc, s47, v17
	v_cmp_ne_u32_e64 s[2:3], 0, v18
	v_cndmask_b32_e32 v16, v19, v16, vcc
	v_cndmask_b32_e64 v18, v25, v23, s[2:3]
	v_cmp_ne_u32_e32 vcc, 0, v16
	v_cndmask_b32_e64 v16, v24, v22, s[2:3]
	v_cndmask_b32_e32 v17, v21, v18, vcc
	v_cndmask_b32_e32 v16, v20, v16, vcc
                                        ; implicit-def: $vgpr18
.LBB6_171:
	s_andn2_saveexec_b64 s[2:3], s[8:9]
	s_cbranch_execz .LBB6_173
; %bb.172:
	v_cvt_f32_u32_e32 v16, s46
	s_sub_i32 s8, 0, s46
	v_rcp_iflag_f32_e32 v16, v16
	v_mul_f32_e32 v16, 0x4f7ffffe, v16
	v_cvt_u32_f32_e32 v16, v16
	v_mul_lo_u32 v17, s8, v16
	v_mul_hi_u32 v17, v16, v17
	v_add_u32_e32 v16, v16, v17
	v_mul_hi_u32 v16, v18, v16
	v_mul_lo_u32 v17, v16, s46
	v_sub_u32_e32 v17, v18, v17
	v_add_u32_e32 v19, 1, v16
	v_subrev_u32_e32 v18, s46, v17
	v_cmp_le_u32_e32 vcc, s46, v17
	v_cndmask_b32_e32 v17, v17, v18, vcc
	v_cndmask_b32_e32 v16, v16, v19, vcc
	v_add_u32_e32 v18, 1, v16
	v_cmp_le_u32_e32 vcc, s46, v17
	v_cndmask_b32_e32 v16, v16, v18, vcc
	v_mov_b32_e32 v17, 0
.LBB6_173:
	s_or_b64 exec, exec, s[2:3]
	v_add_co_u32_e32 v20, vcc, 0x800, v28
	v_addc_co_u32_e32 v21, vcc, 0, v1, vcc
	v_or_b32_e32 v19, s47, v21
	v_mov_b32_e32 v18, 0
	v_cmp_ne_u64_e32 vcc, 0, v[18:19]
                                        ; implicit-def: $vgpr18_vgpr19
	s_and_saveexec_b64 s[2:3], vcc
	s_xor_b64 s[8:9], exec, s[2:3]
	s_cbranch_execz .LBB6_175
; %bb.174:
	v_cvt_f32_u32_e32 v18, s46
	v_cvt_f32_u32_e32 v19, s47
	s_sub_u32 s2, 0, s46
	s_subb_u32 s3, 0, s47
	v_madmk_f32 v18, v19, 0x4f800000, v18
	v_rcp_f32_e32 v18, v18
	v_mul_f32_e32 v18, 0x5f7ffffc, v18
	v_mul_f32_e32 v19, 0x2f800000, v18
	v_trunc_f32_e32 v19, v19
	v_madmk_f32 v18, v19, 0xcf800000, v18
	v_cvt_u32_f32_e32 v19, v19
	v_cvt_u32_f32_e32 v18, v18
	v_mul_lo_u32 v22, s2, v19
	v_mul_hi_u32 v24, s2, v18
	v_mul_lo_u32 v23, s3, v18
	v_add_u32_e32 v22, v24, v22
	v_mul_lo_u32 v25, s2, v18
	v_add_u32_e32 v22, v22, v23
	v_mul_hi_u32 v24, v18, v25
	v_mul_lo_u32 v26, v18, v22
	v_mul_hi_u32 v23, v18, v22
	v_add_co_u32_e32 v24, vcc, v24, v26
	v_addc_co_u32_e32 v23, vcc, 0, v23, vcc
	v_mul_hi_u32 v27, v19, v25
	v_mul_lo_u32 v25, v19, v25
	v_add_co_u32_e32 v24, vcc, v24, v25
	v_mul_hi_u32 v26, v19, v22
	v_addc_co_u32_e32 v23, vcc, v23, v27, vcc
	v_addc_co_u32_e32 v24, vcc, 0, v26, vcc
	v_mul_lo_u32 v22, v19, v22
	v_add_co_u32_e32 v22, vcc, v23, v22
	v_addc_co_u32_e32 v23, vcc, 0, v24, vcc
	v_add_co_u32_e32 v18, vcc, v18, v22
	v_addc_co_u32_e32 v19, vcc, v19, v23, vcc
	v_mul_lo_u32 v22, s2, v19
	v_mul_hi_u32 v23, s2, v18
	v_add_u32_e32 v22, v23, v22
	v_mul_lo_u32 v23, s3, v18
	v_add_u32_e32 v22, v22, v23
	v_mul_lo_u32 v24, s2, v18
	v_mul_hi_u32 v25, v19, v24
	v_mul_lo_u32 v26, v19, v24
	v_mul_lo_u32 v29, v18, v22
	v_mul_hi_u32 v24, v18, v24
	v_mul_hi_u32 v27, v18, v22
	v_add_co_u32_e32 v24, vcc, v24, v29
	v_addc_co_u32_e32 v27, vcc, 0, v27, vcc
	v_add_co_u32_e32 v24, vcc, v24, v26
	v_mul_hi_u32 v23, v19, v22
	v_addc_co_u32_e32 v24, vcc, v27, v25, vcc
	v_addc_co_u32_e32 v23, vcc, 0, v23, vcc
	v_mul_lo_u32 v22, v19, v22
	v_add_co_u32_e32 v22, vcc, v24, v22
	v_addc_co_u32_e32 v23, vcc, 0, v23, vcc
	v_add_co_u32_e32 v22, vcc, v18, v22
	v_addc_co_u32_e32 v23, vcc, v19, v23, vcc
	v_mad_u64_u32 v[18:19], s[2:3], v20, v23, 0
	v_mul_hi_u32 v24, v20, v22
	v_add_co_u32_e32 v24, vcc, v24, v18
	v_addc_co_u32_e32 v25, vcc, 0, v19, vcc
	v_mad_u64_u32 v[18:19], s[2:3], v21, v23, 0
	v_mad_u64_u32 v[22:23], s[2:3], v21, v22, 0
	v_add_co_u32_e32 v22, vcc, v24, v22
	v_addc_co_u32_e32 v22, vcc, v25, v23, vcc
	v_addc_co_u32_e32 v19, vcc, 0, v19, vcc
	v_add_co_u32_e32 v22, vcc, v22, v18
	v_addc_co_u32_e32 v23, vcc, 0, v19, vcc
	v_mul_lo_u32 v24, s47, v22
	v_mul_lo_u32 v25, s46, v23
	v_mad_u64_u32 v[18:19], s[2:3], s46, v22, 0
	v_add3_u32 v19, v19, v25, v24
	v_sub_u32_e32 v24, v21, v19
	v_mov_b32_e32 v25, s47
	v_sub_co_u32_e32 v18, vcc, v20, v18
	v_subb_co_u32_e64 v20, s[2:3], v24, v25, vcc
	v_subrev_co_u32_e64 v24, s[2:3], s46, v18
	v_subbrev_co_u32_e64 v20, s[2:3], 0, v20, s[2:3]
	v_cmp_le_u32_e64 s[2:3], s47, v20
	v_cndmask_b32_e64 v25, 0, -1, s[2:3]
	v_cmp_le_u32_e64 s[2:3], s46, v24
	v_cndmask_b32_e64 v24, 0, -1, s[2:3]
	v_cmp_eq_u32_e64 s[2:3], s47, v20
	v_cndmask_b32_e64 v20, v25, v24, s[2:3]
	v_add_co_u32_e64 v24, s[2:3], 2, v22
	v_subb_co_u32_e32 v19, vcc, v21, v19, vcc
	v_addc_co_u32_e64 v25, s[2:3], 0, v23, s[2:3]
	v_cmp_le_u32_e32 vcc, s47, v19
	v_add_co_u32_e64 v26, s[2:3], 1, v22
	v_cndmask_b32_e64 v21, 0, -1, vcc
	v_cmp_le_u32_e32 vcc, s46, v18
	v_addc_co_u32_e64 v27, s[2:3], 0, v23, s[2:3]
	v_cndmask_b32_e64 v18, 0, -1, vcc
	v_cmp_eq_u32_e32 vcc, s47, v19
	v_cmp_ne_u32_e64 s[2:3], 0, v20
	v_cndmask_b32_e32 v18, v21, v18, vcc
	v_cndmask_b32_e64 v20, v27, v25, s[2:3]
	v_cmp_ne_u32_e32 vcc, 0, v18
	v_cndmask_b32_e64 v18, v26, v24, s[2:3]
	v_cndmask_b32_e32 v19, v23, v20, vcc
	v_cndmask_b32_e32 v18, v22, v18, vcc
                                        ; implicit-def: $vgpr20
.LBB6_175:
	s_andn2_saveexec_b64 s[2:3], s[8:9]
	s_cbranch_execz .LBB6_177
; %bb.176:
	v_cvt_f32_u32_e32 v18, s46
	s_sub_i32 s8, 0, s46
	v_rcp_iflag_f32_e32 v18, v18
	v_mul_f32_e32 v18, 0x4f7ffffe, v18
	v_cvt_u32_f32_e32 v18, v18
	v_mul_lo_u32 v19, s8, v18
	v_mul_hi_u32 v19, v18, v19
	v_add_u32_e32 v18, v18, v19
	v_mul_hi_u32 v18, v20, v18
	v_mul_lo_u32 v19, v18, s46
	v_sub_u32_e32 v19, v20, v19
	v_add_u32_e32 v21, 1, v18
	v_subrev_u32_e32 v20, s46, v19
	v_cmp_le_u32_e32 vcc, s46, v19
	v_cndmask_b32_e32 v19, v19, v20, vcc
	v_cndmask_b32_e32 v18, v18, v21, vcc
	v_add_u32_e32 v20, 1, v18
	v_cmp_le_u32_e32 vcc, s46, v19
	v_cndmask_b32_e32 v18, v18, v20, vcc
	v_mov_b32_e32 v19, 0
.LBB6_177:
	s_or_b64 exec, exec, s[2:3]
	v_add_co_u32_e32 v22, vcc, 0x900, v28
	v_addc_co_u32_e32 v23, vcc, 0, v1, vcc
	v_or_b32_e32 v21, s47, v23
	v_mov_b32_e32 v20, 0
	v_cmp_ne_u64_e32 vcc, 0, v[20:21]
                                        ; implicit-def: $vgpr20_vgpr21
	s_and_saveexec_b64 s[2:3], vcc
	s_xor_b64 s[8:9], exec, s[2:3]
	s_cbranch_execz .LBB6_179
; %bb.178:
	v_cvt_f32_u32_e32 v20, s46
	v_cvt_f32_u32_e32 v21, s47
	s_sub_u32 s2, 0, s46
	s_subb_u32 s3, 0, s47
	v_madmk_f32 v20, v21, 0x4f800000, v20
	v_rcp_f32_e32 v20, v20
	v_mul_f32_e32 v20, 0x5f7ffffc, v20
	v_mul_f32_e32 v21, 0x2f800000, v20
	v_trunc_f32_e32 v21, v21
	v_madmk_f32 v20, v21, 0xcf800000, v20
	v_cvt_u32_f32_e32 v21, v21
	v_cvt_u32_f32_e32 v20, v20
	v_mul_lo_u32 v24, s2, v21
	v_mul_hi_u32 v26, s2, v20
	v_mul_lo_u32 v25, s3, v20
	v_add_u32_e32 v24, v26, v24
	v_mul_lo_u32 v27, s2, v20
	v_add_u32_e32 v24, v24, v25
	v_mul_hi_u32 v26, v20, v27
	v_mul_lo_u32 v29, v20, v24
	v_mul_hi_u32 v25, v20, v24
	v_add_co_u32_e32 v26, vcc, v26, v29
	v_addc_co_u32_e32 v25, vcc, 0, v25, vcc
	v_mul_hi_u32 v30, v21, v27
	v_mul_lo_u32 v27, v21, v27
	v_add_co_u32_e32 v26, vcc, v26, v27
	v_mul_hi_u32 v29, v21, v24
	v_addc_co_u32_e32 v25, vcc, v25, v30, vcc
	v_addc_co_u32_e32 v26, vcc, 0, v29, vcc
	v_mul_lo_u32 v24, v21, v24
	v_add_co_u32_e32 v24, vcc, v25, v24
	v_addc_co_u32_e32 v25, vcc, 0, v26, vcc
	v_add_co_u32_e32 v20, vcc, v20, v24
	v_addc_co_u32_e32 v21, vcc, v21, v25, vcc
	v_mul_lo_u32 v24, s2, v21
	v_mul_hi_u32 v25, s2, v20
	v_add_u32_e32 v24, v25, v24
	v_mul_lo_u32 v25, s3, v20
	v_add_u32_e32 v24, v24, v25
	v_mul_lo_u32 v26, s2, v20
	v_mul_hi_u32 v27, v21, v26
	v_mul_lo_u32 v29, v21, v26
	v_mul_lo_u32 v31, v20, v24
	v_mul_hi_u32 v26, v20, v26
	v_mul_hi_u32 v30, v20, v24
	v_add_co_u32_e32 v26, vcc, v26, v31
	v_addc_co_u32_e32 v30, vcc, 0, v30, vcc
	v_add_co_u32_e32 v26, vcc, v26, v29
	v_mul_hi_u32 v25, v21, v24
	v_addc_co_u32_e32 v26, vcc, v30, v27, vcc
	v_addc_co_u32_e32 v25, vcc, 0, v25, vcc
	v_mul_lo_u32 v24, v21, v24
	v_add_co_u32_e32 v24, vcc, v26, v24
	v_addc_co_u32_e32 v25, vcc, 0, v25, vcc
	v_add_co_u32_e32 v24, vcc, v20, v24
	v_addc_co_u32_e32 v25, vcc, v21, v25, vcc
	v_mad_u64_u32 v[20:21], s[2:3], v22, v25, 0
	v_mul_hi_u32 v26, v22, v24
	v_add_co_u32_e32 v26, vcc, v26, v20
	v_addc_co_u32_e32 v27, vcc, 0, v21, vcc
	v_mad_u64_u32 v[20:21], s[2:3], v23, v25, 0
	v_mad_u64_u32 v[24:25], s[2:3], v23, v24, 0
	v_add_co_u32_e32 v24, vcc, v26, v24
	v_addc_co_u32_e32 v24, vcc, v27, v25, vcc
	v_addc_co_u32_e32 v21, vcc, 0, v21, vcc
	v_add_co_u32_e32 v24, vcc, v24, v20
	v_addc_co_u32_e32 v25, vcc, 0, v21, vcc
	v_mul_lo_u32 v26, s47, v24
	v_mul_lo_u32 v27, s46, v25
	v_mad_u64_u32 v[20:21], s[2:3], s46, v24, 0
	v_add3_u32 v21, v21, v27, v26
	v_sub_u32_e32 v26, v23, v21
	v_mov_b32_e32 v27, s47
	v_sub_co_u32_e32 v20, vcc, v22, v20
	v_subb_co_u32_e64 v22, s[2:3], v26, v27, vcc
	v_subrev_co_u32_e64 v26, s[2:3], s46, v20
	v_subbrev_co_u32_e64 v22, s[2:3], 0, v22, s[2:3]
	v_cmp_le_u32_e64 s[2:3], s47, v22
	v_cndmask_b32_e64 v27, 0, -1, s[2:3]
	v_cmp_le_u32_e64 s[2:3], s46, v26
	v_cndmask_b32_e64 v26, 0, -1, s[2:3]
	v_cmp_eq_u32_e64 s[2:3], s47, v22
	v_cndmask_b32_e64 v22, v27, v26, s[2:3]
	v_add_co_u32_e64 v26, s[2:3], 2, v24
	v_subb_co_u32_e32 v21, vcc, v23, v21, vcc
	v_addc_co_u32_e64 v27, s[2:3], 0, v25, s[2:3]
	v_cmp_le_u32_e32 vcc, s47, v21
	v_add_co_u32_e64 v29, s[2:3], 1, v24
	v_cndmask_b32_e64 v23, 0, -1, vcc
	v_cmp_le_u32_e32 vcc, s46, v20
	v_addc_co_u32_e64 v30, s[2:3], 0, v25, s[2:3]
	v_cndmask_b32_e64 v20, 0, -1, vcc
	v_cmp_eq_u32_e32 vcc, s47, v21
	v_cmp_ne_u32_e64 s[2:3], 0, v22
	v_cndmask_b32_e32 v20, v23, v20, vcc
	v_cndmask_b32_e64 v22, v30, v27, s[2:3]
	v_cmp_ne_u32_e32 vcc, 0, v20
	v_cndmask_b32_e64 v20, v29, v26, s[2:3]
	v_cndmask_b32_e32 v21, v25, v22, vcc
	v_cndmask_b32_e32 v20, v24, v20, vcc
                                        ; implicit-def: $vgpr22
.LBB6_179:
	s_andn2_saveexec_b64 s[2:3], s[8:9]
	s_cbranch_execz .LBB6_181
; %bb.180:
	v_cvt_f32_u32_e32 v20, s46
	s_sub_i32 s8, 0, s46
	v_rcp_iflag_f32_e32 v20, v20
	v_mul_f32_e32 v20, 0x4f7ffffe, v20
	v_cvt_u32_f32_e32 v20, v20
	v_mul_lo_u32 v21, s8, v20
	v_mul_hi_u32 v21, v20, v21
	v_add_u32_e32 v20, v20, v21
	v_mul_hi_u32 v20, v22, v20
	v_mul_lo_u32 v21, v20, s46
	v_sub_u32_e32 v21, v22, v21
	v_add_u32_e32 v23, 1, v20
	v_subrev_u32_e32 v22, s46, v21
	v_cmp_le_u32_e32 vcc, s46, v21
	v_cndmask_b32_e32 v21, v21, v22, vcc
	v_cndmask_b32_e32 v20, v20, v23, vcc
	v_add_u32_e32 v22, 1, v20
	v_cmp_le_u32_e32 vcc, s46, v21
	v_cndmask_b32_e32 v20, v20, v22, vcc
	v_mov_b32_e32 v21, 0
.LBB6_181:
	s_or_b64 exec, exec, s[2:3]
	v_add_co_u32_e32 v24, vcc, 0xa00, v28
	v_addc_co_u32_e32 v25, vcc, 0, v1, vcc
	v_or_b32_e32 v23, s47, v25
	v_mov_b32_e32 v22, 0
	v_cmp_ne_u64_e32 vcc, 0, v[22:23]
                                        ; implicit-def: $vgpr22_vgpr23
	s_and_saveexec_b64 s[2:3], vcc
	s_xor_b64 s[8:9], exec, s[2:3]
	s_cbranch_execz .LBB6_183
; %bb.182:
	v_cvt_f32_u32_e32 v22, s46
	v_cvt_f32_u32_e32 v23, s47
	s_sub_u32 s2, 0, s46
	s_subb_u32 s3, 0, s47
	v_madmk_f32 v22, v23, 0x4f800000, v22
	v_rcp_f32_e32 v22, v22
	v_mul_f32_e32 v22, 0x5f7ffffc, v22
	v_mul_f32_e32 v23, 0x2f800000, v22
	v_trunc_f32_e32 v23, v23
	v_madmk_f32 v22, v23, 0xcf800000, v22
	v_cvt_u32_f32_e32 v23, v23
	v_cvt_u32_f32_e32 v22, v22
	v_mul_lo_u32 v26, s2, v23
	v_mul_hi_u32 v29, s2, v22
	v_mul_lo_u32 v27, s3, v22
	v_add_u32_e32 v26, v29, v26
	v_mul_lo_u32 v30, s2, v22
	v_add_u32_e32 v26, v26, v27
	v_mul_hi_u32 v29, v22, v30
	v_mul_lo_u32 v31, v22, v26
	v_mul_hi_u32 v27, v22, v26
	v_add_co_u32_e32 v29, vcc, v29, v31
	v_addc_co_u32_e32 v27, vcc, 0, v27, vcc
	v_mul_hi_u32 v32, v23, v30
	v_mul_lo_u32 v30, v23, v30
	v_add_co_u32_e32 v29, vcc, v29, v30
	v_mul_hi_u32 v31, v23, v26
	v_addc_co_u32_e32 v27, vcc, v27, v32, vcc
	v_addc_co_u32_e32 v29, vcc, 0, v31, vcc
	v_mul_lo_u32 v26, v23, v26
	v_add_co_u32_e32 v26, vcc, v27, v26
	v_addc_co_u32_e32 v27, vcc, 0, v29, vcc
	v_add_co_u32_e32 v22, vcc, v22, v26
	v_addc_co_u32_e32 v23, vcc, v23, v27, vcc
	v_mul_lo_u32 v26, s2, v23
	v_mul_hi_u32 v27, s2, v22
	v_add_u32_e32 v26, v27, v26
	v_mul_lo_u32 v27, s3, v22
	v_add_u32_e32 v26, v26, v27
	v_mul_lo_u32 v29, s2, v22
	v_mul_hi_u32 v30, v23, v29
	v_mul_lo_u32 v31, v23, v29
	v_mul_lo_u32 v33, v22, v26
	v_mul_hi_u32 v29, v22, v29
	v_mul_hi_u32 v32, v22, v26
	v_add_co_u32_e32 v29, vcc, v29, v33
	v_addc_co_u32_e32 v32, vcc, 0, v32, vcc
	v_add_co_u32_e32 v29, vcc, v29, v31
	v_mul_hi_u32 v27, v23, v26
	v_addc_co_u32_e32 v29, vcc, v32, v30, vcc
	v_addc_co_u32_e32 v27, vcc, 0, v27, vcc
	v_mul_lo_u32 v26, v23, v26
	v_add_co_u32_e32 v26, vcc, v29, v26
	v_addc_co_u32_e32 v27, vcc, 0, v27, vcc
	v_add_co_u32_e32 v26, vcc, v22, v26
	v_addc_co_u32_e32 v27, vcc, v23, v27, vcc
	v_mad_u64_u32 v[22:23], s[2:3], v24, v27, 0
	v_mul_hi_u32 v29, v24, v26
	v_add_co_u32_e32 v29, vcc, v29, v22
	v_addc_co_u32_e32 v30, vcc, 0, v23, vcc
	v_mad_u64_u32 v[22:23], s[2:3], v25, v27, 0
	v_mad_u64_u32 v[26:27], s[2:3], v25, v26, 0
	v_add_co_u32_e32 v26, vcc, v29, v26
	v_addc_co_u32_e32 v26, vcc, v30, v27, vcc
	v_addc_co_u32_e32 v23, vcc, 0, v23, vcc
	v_add_co_u32_e32 v26, vcc, v26, v22
	v_addc_co_u32_e32 v27, vcc, 0, v23, vcc
	v_mul_lo_u32 v29, s47, v26
	v_mul_lo_u32 v30, s46, v27
	v_mad_u64_u32 v[22:23], s[2:3], s46, v26, 0
	v_add3_u32 v23, v23, v30, v29
	v_sub_u32_e32 v29, v25, v23
	v_mov_b32_e32 v30, s47
	v_sub_co_u32_e32 v22, vcc, v24, v22
	v_subb_co_u32_e64 v24, s[2:3], v29, v30, vcc
	v_subrev_co_u32_e64 v29, s[2:3], s46, v22
	v_subbrev_co_u32_e64 v24, s[2:3], 0, v24, s[2:3]
	v_cmp_le_u32_e64 s[2:3], s47, v24
	v_cndmask_b32_e64 v30, 0, -1, s[2:3]
	v_cmp_le_u32_e64 s[2:3], s46, v29
	v_cndmask_b32_e64 v29, 0, -1, s[2:3]
	v_cmp_eq_u32_e64 s[2:3], s47, v24
	v_cndmask_b32_e64 v24, v30, v29, s[2:3]
	v_add_co_u32_e64 v29, s[2:3], 2, v26
	v_subb_co_u32_e32 v23, vcc, v25, v23, vcc
	v_addc_co_u32_e64 v30, s[2:3], 0, v27, s[2:3]
	v_cmp_le_u32_e32 vcc, s47, v23
	v_add_co_u32_e64 v31, s[2:3], 1, v26
	v_cndmask_b32_e64 v25, 0, -1, vcc
	v_cmp_le_u32_e32 vcc, s46, v22
	v_addc_co_u32_e64 v32, s[2:3], 0, v27, s[2:3]
	v_cndmask_b32_e64 v22, 0, -1, vcc
	v_cmp_eq_u32_e32 vcc, s47, v23
	v_cmp_ne_u32_e64 s[2:3], 0, v24
	v_cndmask_b32_e32 v22, v25, v22, vcc
	v_cndmask_b32_e64 v24, v32, v30, s[2:3]
	v_cmp_ne_u32_e32 vcc, 0, v22
	v_cndmask_b32_e64 v22, v31, v29, s[2:3]
	v_cndmask_b32_e32 v23, v27, v24, vcc
	v_cndmask_b32_e32 v22, v26, v22, vcc
                                        ; implicit-def: $vgpr24
.LBB6_183:
	s_andn2_saveexec_b64 s[2:3], s[8:9]
	s_cbranch_execz .LBB6_185
; %bb.184:
	v_cvt_f32_u32_e32 v22, s46
	s_sub_i32 s8, 0, s46
	v_rcp_iflag_f32_e32 v22, v22
	v_mul_f32_e32 v22, 0x4f7ffffe, v22
	v_cvt_u32_f32_e32 v22, v22
	v_mul_lo_u32 v23, s8, v22
	v_mul_hi_u32 v23, v22, v23
	v_add_u32_e32 v22, v22, v23
	v_mul_hi_u32 v22, v24, v22
	v_mul_lo_u32 v23, v22, s46
	v_sub_u32_e32 v23, v24, v23
	v_add_u32_e32 v25, 1, v22
	v_subrev_u32_e32 v24, s46, v23
	v_cmp_le_u32_e32 vcc, s46, v23
	v_cndmask_b32_e32 v23, v23, v24, vcc
	v_cndmask_b32_e32 v22, v22, v25, vcc
	v_add_u32_e32 v24, 1, v22
	v_cmp_le_u32_e32 vcc, s46, v23
	v_cndmask_b32_e32 v22, v22, v24, vcc
	v_mov_b32_e32 v23, 0
.LBB6_185:
	s_or_b64 exec, exec, s[2:3]
	v_add_co_u32_e32 v26, vcc, 0xb00, v28
	v_addc_co_u32_e32 v27, vcc, 0, v1, vcc
	v_or_b32_e32 v25, s47, v27
	v_mov_b32_e32 v24, 0
	v_cmp_ne_u64_e32 vcc, 0, v[24:25]
                                        ; implicit-def: $vgpr24_vgpr25
	s_and_saveexec_b64 s[2:3], vcc
	s_xor_b64 s[8:9], exec, s[2:3]
	s_cbranch_execz .LBB6_187
; %bb.186:
	v_cvt_f32_u32_e32 v24, s46
	v_cvt_f32_u32_e32 v25, s47
	s_sub_u32 s2, 0, s46
	s_subb_u32 s3, 0, s47
	v_madmk_f32 v24, v25, 0x4f800000, v24
	v_rcp_f32_e32 v24, v24
	v_mul_f32_e32 v24, 0x5f7ffffc, v24
	v_mul_f32_e32 v25, 0x2f800000, v24
	v_trunc_f32_e32 v25, v25
	v_madmk_f32 v24, v25, 0xcf800000, v24
	v_cvt_u32_f32_e32 v25, v25
	v_cvt_u32_f32_e32 v24, v24
	v_mul_lo_u32 v29, s2, v25
	v_mul_hi_u32 v31, s2, v24
	v_mul_lo_u32 v30, s3, v24
	v_add_u32_e32 v29, v31, v29
	v_mul_lo_u32 v32, s2, v24
	v_add_u32_e32 v29, v29, v30
	v_mul_hi_u32 v31, v24, v32
	v_mul_lo_u32 v33, v24, v29
	v_mul_hi_u32 v30, v24, v29
	v_add_co_u32_e32 v31, vcc, v31, v33
	v_addc_co_u32_e32 v30, vcc, 0, v30, vcc
	v_mul_hi_u32 v34, v25, v32
	v_mul_lo_u32 v32, v25, v32
	v_add_co_u32_e32 v31, vcc, v31, v32
	v_mul_hi_u32 v33, v25, v29
	v_addc_co_u32_e32 v30, vcc, v30, v34, vcc
	v_addc_co_u32_e32 v31, vcc, 0, v33, vcc
	v_mul_lo_u32 v29, v25, v29
	v_add_co_u32_e32 v29, vcc, v30, v29
	v_addc_co_u32_e32 v30, vcc, 0, v31, vcc
	v_add_co_u32_e32 v24, vcc, v24, v29
	v_addc_co_u32_e32 v25, vcc, v25, v30, vcc
	v_mul_lo_u32 v29, s2, v25
	v_mul_hi_u32 v30, s2, v24
	v_add_u32_e32 v29, v30, v29
	v_mul_lo_u32 v30, s3, v24
	v_add_u32_e32 v29, v29, v30
	v_mul_lo_u32 v31, s2, v24
	v_mul_hi_u32 v32, v25, v31
	v_mul_lo_u32 v33, v25, v31
	v_mul_lo_u32 v35, v24, v29
	v_mul_hi_u32 v31, v24, v31
	v_mul_hi_u32 v34, v24, v29
	v_add_co_u32_e32 v31, vcc, v31, v35
	v_addc_co_u32_e32 v34, vcc, 0, v34, vcc
	v_add_co_u32_e32 v31, vcc, v31, v33
	v_mul_hi_u32 v30, v25, v29
	v_addc_co_u32_e32 v31, vcc, v34, v32, vcc
	v_addc_co_u32_e32 v30, vcc, 0, v30, vcc
	v_mul_lo_u32 v29, v25, v29
	v_add_co_u32_e32 v29, vcc, v31, v29
	v_addc_co_u32_e32 v30, vcc, 0, v30, vcc
	v_add_co_u32_e32 v29, vcc, v24, v29
	v_addc_co_u32_e32 v30, vcc, v25, v30, vcc
	v_mad_u64_u32 v[24:25], s[2:3], v26, v30, 0
	v_mul_hi_u32 v31, v26, v29
	v_add_co_u32_e32 v32, vcc, v31, v24
	v_addc_co_u32_e32 v33, vcc, 0, v25, vcc
	v_mad_u64_u32 v[24:25], s[2:3], v27, v30, 0
	v_mad_u64_u32 v[30:31], s[2:3], v27, v29, 0
	v_add_co_u32_e32 v29, vcc, v32, v30
	v_addc_co_u32_e32 v29, vcc, v33, v31, vcc
	v_addc_co_u32_e32 v25, vcc, 0, v25, vcc
	v_add_co_u32_e32 v29, vcc, v29, v24
	v_addc_co_u32_e32 v30, vcc, 0, v25, vcc
	v_mul_lo_u32 v31, s47, v29
	v_mul_lo_u32 v32, s46, v30
	v_mad_u64_u32 v[24:25], s[2:3], s46, v29, 0
	v_add3_u32 v25, v25, v32, v31
	v_sub_u32_e32 v31, v27, v25
	v_mov_b32_e32 v32, s47
	v_sub_co_u32_e32 v24, vcc, v26, v24
	v_subb_co_u32_e64 v26, s[2:3], v31, v32, vcc
	v_subrev_co_u32_e64 v31, s[2:3], s46, v24
	v_subbrev_co_u32_e64 v26, s[2:3], 0, v26, s[2:3]
	v_cmp_le_u32_e64 s[2:3], s47, v26
	v_cndmask_b32_e64 v32, 0, -1, s[2:3]
	v_cmp_le_u32_e64 s[2:3], s46, v31
	v_cndmask_b32_e64 v31, 0, -1, s[2:3]
	v_cmp_eq_u32_e64 s[2:3], s47, v26
	v_cndmask_b32_e64 v26, v32, v31, s[2:3]
	v_add_co_u32_e64 v31, s[2:3], 2, v29
	v_subb_co_u32_e32 v25, vcc, v27, v25, vcc
	v_addc_co_u32_e64 v32, s[2:3], 0, v30, s[2:3]
	v_cmp_le_u32_e32 vcc, s47, v25
	v_add_co_u32_e64 v33, s[2:3], 1, v29
	v_cndmask_b32_e64 v27, 0, -1, vcc
	v_cmp_le_u32_e32 vcc, s46, v24
	v_addc_co_u32_e64 v34, s[2:3], 0, v30, s[2:3]
	v_cndmask_b32_e64 v24, 0, -1, vcc
	v_cmp_eq_u32_e32 vcc, s47, v25
	v_cmp_ne_u32_e64 s[2:3], 0, v26
	v_cndmask_b32_e32 v24, v27, v24, vcc
	v_cndmask_b32_e64 v26, v34, v32, s[2:3]
	v_cmp_ne_u32_e32 vcc, 0, v24
	v_cndmask_b32_e64 v24, v33, v31, s[2:3]
	v_cndmask_b32_e32 v25, v30, v26, vcc
	v_cndmask_b32_e32 v24, v29, v24, vcc
                                        ; implicit-def: $vgpr26
.LBB6_187:
	s_andn2_saveexec_b64 s[2:3], s[8:9]
	s_cbranch_execz .LBB6_189
; %bb.188:
	v_cvt_f32_u32_e32 v24, s46
	s_sub_i32 s8, 0, s46
	v_rcp_iflag_f32_e32 v24, v24
	v_mul_f32_e32 v24, 0x4f7ffffe, v24
	v_cvt_u32_f32_e32 v24, v24
	v_mul_lo_u32 v25, s8, v24
	v_mul_hi_u32 v25, v24, v25
	v_add_u32_e32 v24, v24, v25
	v_mul_hi_u32 v24, v26, v24
	v_mul_lo_u32 v25, v24, s46
	v_sub_u32_e32 v25, v26, v25
	v_add_u32_e32 v27, 1, v24
	v_subrev_u32_e32 v26, s46, v25
	v_cmp_le_u32_e32 vcc, s46, v25
	v_cndmask_b32_e32 v25, v25, v26, vcc
	v_cndmask_b32_e32 v24, v24, v27, vcc
	v_add_u32_e32 v26, 1, v24
	v_cmp_le_u32_e32 vcc, s46, v25
	v_cndmask_b32_e32 v24, v24, v26, vcc
	v_mov_b32_e32 v25, 0
.LBB6_189:
	s_or_b64 exec, exec, s[2:3]
	v_add_co_u32_e32 v29, vcc, 0xc00, v28
	v_addc_co_u32_e32 v30, vcc, 0, v1, vcc
	v_or_b32_e32 v27, s47, v30
	v_mov_b32_e32 v26, 0
	v_cmp_ne_u64_e32 vcc, 0, v[26:27]
                                        ; implicit-def: $vgpr26_vgpr27
	s_and_saveexec_b64 s[2:3], vcc
	s_xor_b64 s[8:9], exec, s[2:3]
	s_cbranch_execz .LBB6_191
; %bb.190:
	v_cvt_f32_u32_e32 v26, s46
	v_cvt_f32_u32_e32 v27, s47
	s_sub_u32 s2, 0, s46
	s_subb_u32 s3, 0, s47
	v_madmk_f32 v26, v27, 0x4f800000, v26
	v_rcp_f32_e32 v26, v26
	v_mul_f32_e32 v26, 0x5f7ffffc, v26
	v_mul_f32_e32 v27, 0x2f800000, v26
	v_trunc_f32_e32 v27, v27
	v_madmk_f32 v26, v27, 0xcf800000, v26
	v_cvt_u32_f32_e32 v27, v27
	v_cvt_u32_f32_e32 v26, v26
	v_mul_lo_u32 v31, s2, v27
	v_mul_hi_u32 v33, s2, v26
	v_mul_lo_u32 v32, s3, v26
	v_add_u32_e32 v31, v33, v31
	v_mul_lo_u32 v34, s2, v26
	v_add_u32_e32 v31, v31, v32
	v_mul_hi_u32 v33, v26, v34
	v_mul_lo_u32 v35, v26, v31
	v_mul_hi_u32 v32, v26, v31
	v_add_co_u32_e32 v33, vcc, v33, v35
	v_addc_co_u32_e32 v32, vcc, 0, v32, vcc
	v_mul_hi_u32 v36, v27, v34
	v_mul_lo_u32 v34, v27, v34
	v_add_co_u32_e32 v33, vcc, v33, v34
	v_mul_hi_u32 v35, v27, v31
	v_addc_co_u32_e32 v32, vcc, v32, v36, vcc
	v_addc_co_u32_e32 v33, vcc, 0, v35, vcc
	v_mul_lo_u32 v31, v27, v31
	v_add_co_u32_e32 v31, vcc, v32, v31
	v_addc_co_u32_e32 v32, vcc, 0, v33, vcc
	v_add_co_u32_e32 v26, vcc, v26, v31
	v_addc_co_u32_e32 v27, vcc, v27, v32, vcc
	v_mul_lo_u32 v31, s2, v27
	v_mul_hi_u32 v32, s2, v26
	v_add_u32_e32 v31, v32, v31
	v_mul_lo_u32 v32, s3, v26
	v_add_u32_e32 v31, v31, v32
	v_mul_lo_u32 v33, s2, v26
	v_mul_hi_u32 v34, v27, v33
	v_mul_lo_u32 v35, v27, v33
	v_mul_lo_u32 v37, v26, v31
	v_mul_hi_u32 v33, v26, v33
	v_mul_hi_u32 v36, v26, v31
	v_add_co_u32_e32 v33, vcc, v33, v37
	v_addc_co_u32_e32 v36, vcc, 0, v36, vcc
	v_add_co_u32_e32 v33, vcc, v33, v35
	v_mul_hi_u32 v32, v27, v31
	v_addc_co_u32_e32 v33, vcc, v36, v34, vcc
	v_addc_co_u32_e32 v32, vcc, 0, v32, vcc
	v_mul_lo_u32 v31, v27, v31
	v_add_co_u32_e32 v31, vcc, v33, v31
	v_addc_co_u32_e32 v32, vcc, 0, v32, vcc
	v_add_co_u32_e32 v31, vcc, v26, v31
	v_addc_co_u32_e32 v32, vcc, v27, v32, vcc
	v_mad_u64_u32 v[26:27], s[2:3], v29, v32, 0
	v_mul_hi_u32 v33, v29, v31
	v_add_co_u32_e32 v34, vcc, v33, v26
	v_addc_co_u32_e32 v35, vcc, 0, v27, vcc
	v_mad_u64_u32 v[26:27], s[2:3], v30, v32, 0
	v_mad_u64_u32 v[32:33], s[2:3], v30, v31, 0
	v_add_co_u32_e32 v31, vcc, v34, v32
	v_addc_co_u32_e32 v31, vcc, v35, v33, vcc
	v_addc_co_u32_e32 v27, vcc, 0, v27, vcc
	v_add_co_u32_e32 v31, vcc, v31, v26
	v_addc_co_u32_e32 v32, vcc, 0, v27, vcc
	v_mul_lo_u32 v33, s47, v31
	v_mul_lo_u32 v34, s46, v32
	v_mad_u64_u32 v[26:27], s[2:3], s46, v31, 0
	v_add3_u32 v27, v27, v34, v33
	v_sub_u32_e32 v33, v30, v27
	v_mov_b32_e32 v34, s47
	v_sub_co_u32_e32 v26, vcc, v29, v26
	v_subb_co_u32_e64 v29, s[2:3], v33, v34, vcc
	v_subrev_co_u32_e64 v33, s[2:3], s46, v26
	v_subbrev_co_u32_e64 v29, s[2:3], 0, v29, s[2:3]
	v_cmp_le_u32_e64 s[2:3], s47, v29
	v_cndmask_b32_e64 v34, 0, -1, s[2:3]
	v_cmp_le_u32_e64 s[2:3], s46, v33
	v_cndmask_b32_e64 v33, 0, -1, s[2:3]
	v_cmp_eq_u32_e64 s[2:3], s47, v29
	v_cndmask_b32_e64 v29, v34, v33, s[2:3]
	v_add_co_u32_e64 v33, s[2:3], 2, v31
	v_subb_co_u32_e32 v27, vcc, v30, v27, vcc
	v_addc_co_u32_e64 v34, s[2:3], 0, v32, s[2:3]
	v_cmp_le_u32_e32 vcc, s47, v27
	v_add_co_u32_e64 v35, s[2:3], 1, v31
	v_cndmask_b32_e64 v30, 0, -1, vcc
	v_cmp_le_u32_e32 vcc, s46, v26
	v_addc_co_u32_e64 v36, s[2:3], 0, v32, s[2:3]
	v_cndmask_b32_e64 v26, 0, -1, vcc
	v_cmp_eq_u32_e32 vcc, s47, v27
	v_cmp_ne_u32_e64 s[2:3], 0, v29
	v_cndmask_b32_e32 v26, v30, v26, vcc
	v_cndmask_b32_e64 v29, v36, v34, s[2:3]
	v_cmp_ne_u32_e32 vcc, 0, v26
	v_cndmask_b32_e64 v26, v35, v33, s[2:3]
	v_cndmask_b32_e32 v27, v32, v29, vcc
	v_cndmask_b32_e32 v26, v31, v26, vcc
                                        ; implicit-def: $vgpr29
.LBB6_191:
	s_andn2_saveexec_b64 s[2:3], s[8:9]
	s_cbranch_execz .LBB6_193
; %bb.192:
	v_cvt_f32_u32_e32 v26, s46
	s_sub_i32 s8, 0, s46
	v_rcp_iflag_f32_e32 v26, v26
	v_mul_f32_e32 v26, 0x4f7ffffe, v26
	v_cvt_u32_f32_e32 v26, v26
	v_mul_lo_u32 v27, s8, v26
	v_mul_hi_u32 v27, v26, v27
	v_add_u32_e32 v26, v26, v27
	v_mul_hi_u32 v26, v29, v26
	v_mul_lo_u32 v27, v26, s46
	v_sub_u32_e32 v27, v29, v27
	v_add_u32_e32 v30, 1, v26
	v_subrev_u32_e32 v29, s46, v27
	v_cmp_le_u32_e32 vcc, s46, v27
	v_cndmask_b32_e32 v27, v27, v29, vcc
	v_cndmask_b32_e32 v26, v26, v30, vcc
	v_add_u32_e32 v29, 1, v26
	v_cmp_le_u32_e32 vcc, s46, v27
	v_cndmask_b32_e32 v26, v26, v29, vcc
	v_mov_b32_e32 v27, 0
.LBB6_193:
	s_or_b64 exec, exec, s[2:3]
	v_add_co_u32_e32 v30, vcc, 0xd00, v28
	v_addc_co_u32_e32 v1, vcc, 0, v1, vcc
	v_or_b32_e32 v29, s47, v1
	v_mov_b32_e32 v28, 0
	v_cmp_ne_u64_e32 vcc, 0, v[28:29]
                                        ; implicit-def: $vgpr28_vgpr29
	s_and_saveexec_b64 s[2:3], vcc
	s_xor_b64 s[8:9], exec, s[2:3]
	s_cbranch_execz .LBB6_195
; %bb.194:
	v_cvt_f32_u32_e32 v28, s46
	v_cvt_f32_u32_e32 v29, s47
	s_sub_u32 s2, 0, s46
	s_subb_u32 s3, 0, s47
	v_madmk_f32 v28, v29, 0x4f800000, v28
	v_rcp_f32_e32 v28, v28
	v_mul_f32_e32 v28, 0x5f7ffffc, v28
	v_mul_f32_e32 v29, 0x2f800000, v28
	v_trunc_f32_e32 v29, v29
	v_madmk_f32 v28, v29, 0xcf800000, v28
	v_cvt_u32_f32_e32 v29, v29
	v_cvt_u32_f32_e32 v28, v28
	v_mul_lo_u32 v31, s2, v29
	v_mul_hi_u32 v33, s2, v28
	v_mul_lo_u32 v32, s3, v28
	v_add_u32_e32 v31, v33, v31
	v_mul_lo_u32 v34, s2, v28
	v_add_u32_e32 v31, v31, v32
	v_mul_hi_u32 v33, v28, v34
	v_mul_lo_u32 v35, v28, v31
	v_mul_hi_u32 v32, v28, v31
	v_add_co_u32_e32 v33, vcc, v33, v35
	v_addc_co_u32_e32 v32, vcc, 0, v32, vcc
	v_mul_hi_u32 v36, v29, v34
	v_mul_lo_u32 v34, v29, v34
	v_add_co_u32_e32 v33, vcc, v33, v34
	v_mul_hi_u32 v35, v29, v31
	v_addc_co_u32_e32 v32, vcc, v32, v36, vcc
	v_addc_co_u32_e32 v33, vcc, 0, v35, vcc
	v_mul_lo_u32 v31, v29, v31
	v_add_co_u32_e32 v31, vcc, v32, v31
	v_addc_co_u32_e32 v32, vcc, 0, v33, vcc
	v_add_co_u32_e32 v28, vcc, v28, v31
	v_addc_co_u32_e32 v29, vcc, v29, v32, vcc
	v_mul_lo_u32 v31, s2, v29
	v_mul_hi_u32 v32, s2, v28
	v_add_u32_e32 v31, v32, v31
	v_mul_lo_u32 v32, s3, v28
	v_add_u32_e32 v31, v31, v32
	v_mul_lo_u32 v33, s2, v28
	v_mul_hi_u32 v34, v29, v33
	v_mul_lo_u32 v35, v29, v33
	v_mul_lo_u32 v37, v28, v31
	v_mul_hi_u32 v33, v28, v33
	v_mul_hi_u32 v36, v28, v31
	v_add_co_u32_e32 v33, vcc, v33, v37
	v_addc_co_u32_e32 v36, vcc, 0, v36, vcc
	v_add_co_u32_e32 v33, vcc, v33, v35
	v_mul_hi_u32 v32, v29, v31
	v_addc_co_u32_e32 v33, vcc, v36, v34, vcc
	v_addc_co_u32_e32 v32, vcc, 0, v32, vcc
	v_mul_lo_u32 v31, v29, v31
	v_add_co_u32_e32 v31, vcc, v33, v31
	v_addc_co_u32_e32 v32, vcc, 0, v32, vcc
	v_add_co_u32_e32 v31, vcc, v28, v31
	v_addc_co_u32_e32 v32, vcc, v29, v32, vcc
	v_mad_u64_u32 v[28:29], s[2:3], v30, v32, 0
	v_mul_hi_u32 v33, v30, v31
	v_add_co_u32_e32 v34, vcc, v33, v28
	v_addc_co_u32_e32 v35, vcc, 0, v29, vcc
	v_mad_u64_u32 v[28:29], s[2:3], v1, v32, 0
	v_mad_u64_u32 v[32:33], s[2:3], v1, v31, 0
	v_add_co_u32_e32 v31, vcc, v34, v32
	v_addc_co_u32_e32 v31, vcc, v35, v33, vcc
	v_addc_co_u32_e32 v29, vcc, 0, v29, vcc
	v_add_co_u32_e32 v31, vcc, v31, v28
	v_addc_co_u32_e32 v32, vcc, 0, v29, vcc
	v_mul_lo_u32 v33, s47, v31
	v_mul_lo_u32 v34, s46, v32
	v_mad_u64_u32 v[28:29], s[2:3], s46, v31, 0
	v_add3_u32 v29, v29, v34, v33
	v_sub_u32_e32 v33, v1, v29
	v_mov_b32_e32 v34, s47
	v_sub_co_u32_e32 v28, vcc, v30, v28
	v_subb_co_u32_e64 v30, s[2:3], v33, v34, vcc
	v_subrev_co_u32_e64 v33, s[2:3], s46, v28
	v_subbrev_co_u32_e64 v30, s[2:3], 0, v30, s[2:3]
	v_cmp_le_u32_e64 s[2:3], s47, v30
	v_cndmask_b32_e64 v34, 0, -1, s[2:3]
	v_cmp_le_u32_e64 s[2:3], s46, v33
	v_cndmask_b32_e64 v33, 0, -1, s[2:3]
	v_cmp_eq_u32_e64 s[2:3], s47, v30
	v_cndmask_b32_e64 v30, v34, v33, s[2:3]
	v_add_co_u32_e64 v33, s[2:3], 2, v31
	v_subb_co_u32_e32 v1, vcc, v1, v29, vcc
	v_addc_co_u32_e64 v34, s[2:3], 0, v32, s[2:3]
	v_cmp_le_u32_e32 vcc, s47, v1
	v_add_co_u32_e64 v35, s[2:3], 1, v31
	v_cndmask_b32_e64 v29, 0, -1, vcc
	v_cmp_le_u32_e32 vcc, s46, v28
	v_addc_co_u32_e64 v36, s[2:3], 0, v32, s[2:3]
	v_cndmask_b32_e64 v28, 0, -1, vcc
	v_cmp_eq_u32_e32 vcc, s47, v1
	v_cmp_ne_u32_e64 s[2:3], 0, v30
	v_cndmask_b32_e32 v1, v29, v28, vcc
	v_cndmask_b32_e64 v30, v36, v34, s[2:3]
	v_cmp_ne_u32_e32 vcc, 0, v1
	v_cndmask_b32_e64 v1, v35, v33, s[2:3]
	v_cndmask_b32_e32 v29, v32, v30, vcc
	v_cndmask_b32_e32 v28, v31, v1, vcc
                                        ; implicit-def: $vgpr30
.LBB6_195:
	s_andn2_saveexec_b64 s[2:3], s[8:9]
	s_cbranch_execz .LBB6_197
; %bb.196:
	v_cvt_f32_u32_e32 v1, s46
	s_sub_i32 s8, 0, s46
	v_rcp_iflag_f32_e32 v1, v1
	v_mul_f32_e32 v1, 0x4f7ffffe, v1
	v_cvt_u32_f32_e32 v1, v1
	v_mul_lo_u32 v28, s8, v1
	v_mul_hi_u32 v28, v1, v28
	v_add_u32_e32 v1, v1, v28
	v_mul_hi_u32 v1, v30, v1
	v_mul_lo_u32 v28, v1, s46
	v_sub_u32_e32 v28, v30, v28
	v_add_u32_e32 v29, 1, v1
	v_subrev_u32_e32 v30, s46, v28
	v_cmp_le_u32_e32 vcc, s46, v28
	v_cndmask_b32_e32 v28, v28, v30, vcc
	v_cndmask_b32_e32 v1, v1, v29, vcc
	v_add_u32_e32 v29, 1, v1
	v_cmp_le_u32_e32 vcc, s46, v28
	v_cndmask_b32_e32 v28, v1, v29, vcc
	v_mov_b32_e32 v29, 0
.LBB6_197:
	s_or_b64 exec, exec, s[2:3]
	v_lshlrev_b32_e32 v1, 3, v0
	s_movk_i32 s2, 0x68
	ds_write2st64_b64 v1, v[2:3], v[4:5] offset1:4
	ds_write2st64_b64 v1, v[6:7], v[8:9] offset0:8 offset1:12
	ds_write2st64_b64 v1, v[10:11], v[12:13] offset0:16 offset1:20
	;; [unrolled: 1-line block ×6, first 2 shown]
	v_mad_u32_u24 v1, v0, s2, v1
	s_waitcnt lgkmcnt(0)
	s_barrier
	ds_read_b128 v[14:17], v1
	ds_read_b128 v[2:5], v1 offset:16
	ds_read_b128 v[30:33], v1 offset:32
	;; [unrolled: 1-line block ×6, first 2 shown]
	s_cmp_eq_u64 s[48:49], 0
	s_cbranch_scc1 .LBB6_213
; %bb.198:
	s_andn2_b64 vcc, exec, s[50:51]
	s_cbranch_vccnz .LBB6_214
; %bb.199:
	s_lshl_b64 s[2:3], s[48:49], 3
	s_add_u32 s2, s42, s2
	s_addc_u32 s3, s43, s3
	s_add_u32 s2, s2, -8
	s_addc_u32 s3, s3, -1
	s_load_dwordx2 s[2:3], s[2:3], 0x0
	s_waitcnt lgkmcnt(0)
	v_pk_mov_b32 v[6:7], s[2:3], s[2:3] op_sel:[0,1]
	s_cbranch_execz .LBB6_215
	s_branch .LBB6_218
.LBB6_200:
	v_lshlrev_b32_e32 v3, 2, v0
	v_mov_b32_e32 v5, s55
	v_add_co_u32_e32 v4, vcc, s7, v3
	v_addc_co_u32_e32 v5, vcc, 0, v5, vcc
	flat_load_dword v3, v[4:5]
	s_or_b64 exec, exec, s[36:37]
                                        ; implicit-def: $vgpr4
	s_and_saveexec_b64 s[2:3], s[34:35]
	s_cbranch_execz .LBB6_101
.LBB6_201:
	v_lshlrev_b32_e32 v4, 2, v0
	v_mov_b32_e32 v5, s55
	v_add_co_u32_e32 v4, vcc, s7, v4
	v_addc_co_u32_e32 v5, vcc, 0, v5, vcc
	flat_load_dword v4, v[4:5] offset:1024
	s_or_b64 exec, exec, s[2:3]
                                        ; implicit-def: $vgpr5
	s_and_saveexec_b64 s[2:3], s[8:9]
	s_cbranch_execz .LBB6_102
.LBB6_202:
	v_lshlrev_b32_e32 v5, 2, v0
	v_mov_b32_e32 v7, s55
	v_add_co_u32_e32 v6, vcc, s7, v5
	v_addc_co_u32_e32 v7, vcc, 0, v7, vcc
	flat_load_dword v5, v[6:7] offset:2048
	s_or_b64 exec, exec, s[2:3]
                                        ; implicit-def: $vgpr6
	s_and_saveexec_b64 s[2:3], s[10:11]
	s_cbranch_execz .LBB6_103
.LBB6_203:
	v_lshlrev_b32_e32 v6, 2, v0
	v_mov_b32_e32 v7, s55
	v_add_co_u32_e32 v6, vcc, s7, v6
	v_addc_co_u32_e32 v7, vcc, 0, v7, vcc
	flat_load_dword v6, v[6:7] offset:3072
	s_or_b64 exec, exec, s[2:3]
                                        ; implicit-def: $vgpr7
	s_and_saveexec_b64 s[2:3], s[12:13]
	s_cbranch_execz .LBB6_104
.LBB6_204:
	v_lshlrev_b32_e32 v1, 2, v1
	v_mov_b32_e32 v7, s55
	v_add_co_u32_e32 v8, vcc, s7, v1
	v_addc_co_u32_e32 v9, vcc, 0, v7, vcc
	flat_load_dword v7, v[8:9]
	s_or_b64 exec, exec, s[2:3]
                                        ; implicit-def: $vgpr8
	s_and_saveexec_b64 s[2:3], s[14:15]
	s_cbranch_execz .LBB6_105
.LBB6_205:
	v_lshlrev_b32_e32 v1, 2, v56
	v_mov_b32_e32 v9, s55
	v_add_co_u32_e32 v8, vcc, s7, v1
	v_addc_co_u32_e32 v9, vcc, 0, v9, vcc
	flat_load_dword v8, v[8:9]
	s_or_b64 exec, exec, s[2:3]
                                        ; implicit-def: $vgpr9
	s_and_saveexec_b64 s[2:3], s[16:17]
	s_cbranch_execz .LBB6_106
.LBB6_206:
	v_lshlrev_b32_e32 v1, 2, v57
	v_mov_b32_e32 v9, s55
	v_add_co_u32_e32 v10, vcc, s7, v1
	v_addc_co_u32_e32 v11, vcc, 0, v9, vcc
	flat_load_dword v9, v[10:11]
	s_or_b64 exec, exec, s[2:3]
                                        ; implicit-def: $vgpr10
	s_and_saveexec_b64 s[2:3], s[18:19]
	s_cbranch_execz .LBB6_107
.LBB6_207:
	v_lshlrev_b32_e32 v1, 2, v58
	v_mov_b32_e32 v11, s55
	v_add_co_u32_e32 v10, vcc, s7, v1
	v_addc_co_u32_e32 v11, vcc, 0, v11, vcc
	flat_load_dword v10, v[10:11]
	s_or_b64 exec, exec, s[2:3]
                                        ; implicit-def: $vgpr11
	s_and_saveexec_b64 s[2:3], s[20:21]
	s_cbranch_execz .LBB6_108
.LBB6_208:
	v_lshlrev_b32_e32 v1, 2, v59
	v_mov_b32_e32 v11, s55
	v_add_co_u32_e32 v12, vcc, s7, v1
	v_addc_co_u32_e32 v13, vcc, 0, v11, vcc
	flat_load_dword v11, v[12:13]
	s_or_b64 exec, exec, s[2:3]
                                        ; implicit-def: $vgpr12
	s_and_saveexec_b64 s[2:3], s[22:23]
	s_cbranch_execz .LBB6_109
.LBB6_209:
	v_lshlrev_b32_e32 v1, 2, v60
	v_mov_b32_e32 v13, s55
	v_add_co_u32_e32 v12, vcc, s7, v1
	v_addc_co_u32_e32 v13, vcc, 0, v13, vcc
	flat_load_dword v12, v[12:13]
	s_or_b64 exec, exec, s[2:3]
                                        ; implicit-def: $vgpr13
	s_and_saveexec_b64 s[2:3], s[24:25]
	s_cbranch_execz .LBB6_110
.LBB6_210:
	v_lshlrev_b32_e32 v1, 2, v61
	v_mov_b32_e32 v13, s55
	v_add_co_u32_e32 v14, vcc, s7, v1
	v_addc_co_u32_e32 v15, vcc, 0, v13, vcc
	flat_load_dword v13, v[14:15]
	s_or_b64 exec, exec, s[2:3]
                                        ; implicit-def: $vgpr14
	s_and_saveexec_b64 s[2:3], s[26:27]
	s_cbranch_execz .LBB6_111
.LBB6_211:
	v_lshlrev_b32_e32 v1, 2, v62
	v_mov_b32_e32 v15, s55
	v_add_co_u32_e32 v14, vcc, s7, v1
	v_addc_co_u32_e32 v15, vcc, 0, v15, vcc
	flat_load_dword v14, v[14:15]
	s_or_b64 exec, exec, s[2:3]
                                        ; implicit-def: $vgpr15
	s_and_saveexec_b64 s[2:3], s[28:29]
	s_cbranch_execz .LBB6_112
.LBB6_212:
	v_lshlrev_b32_e32 v1, 2, v63
	v_mov_b32_e32 v15, s55
	v_add_co_u32_e32 v16, vcc, s7, v1
	v_addc_co_u32_e32 v17, vcc, 0, v15, vcc
	flat_load_dword v15, v[16:17]
	s_or_b64 exec, exec, s[2:3]
                                        ; implicit-def: $vgpr16
	s_and_saveexec_b64 s[2:3], s[30:31]
	s_cbranch_execnz .LBB6_113
	s_branch .LBB6_114
.LBB6_213:
                                        ; implicit-def: $vgpr6_vgpr7
	s_branch .LBB6_219
.LBB6_214:
                                        ; implicit-def: $sgpr2_sgpr3
	v_pk_mov_b32 v[6:7], s[2:3], s[2:3] op_sel:[0,1]
.LBB6_215:
	s_add_u32 s8, s44, -1
	s_addc_u32 s9, s45, -1
	s_or_b64 s[2:3], s[8:9], s[46:47]
	s_mov_b32 s2, 0
	s_cmp_lg_u64 s[2:3], 0
	s_mov_b64 s[10:11], -1
	s_cbranch_scc0 .LBB6_307
; %bb.216:
	v_cvt_f32_u32_e32 v6, s46
	v_cvt_f32_u32_e32 v7, s47
	s_sub_u32 s2, 0, s46
	s_subb_u32 s3, 0, s47
	v_madmk_f32 v6, v7, 0x4f800000, v6
	v_rcp_f32_e32 v6, v6
	v_mul_f32_e32 v6, 0x5f7ffffc, v6
	v_mul_f32_e32 v7, 0x2f800000, v6
	v_trunc_f32_e32 v7, v7
	v_madmk_f32 v6, v7, 0xcf800000, v6
	v_cvt_u32_f32_e32 v7, v7
	v_cvt_u32_f32_e32 v6, v6
	v_readfirstlane_b32 s12, v7
	v_readfirstlane_b32 s13, v6
	s_mul_i32 s14, s2, s12
	s_mul_hi_u32 s16, s2, s13
	s_mul_i32 s15, s3, s13
	s_add_i32 s14, s16, s14
	s_add_i32 s14, s14, s15
	s_mul_i32 s17, s2, s13
	s_mul_hi_u32 s15, s13, s14
	s_mul_i32 s16, s13, s14
	s_mul_hi_u32 s13, s13, s17
	s_add_u32 s13, s13, s16
	s_addc_u32 s15, 0, s15
	s_mul_hi_u32 s18, s12, s17
	s_mul_i32 s17, s12, s17
	s_add_u32 s13, s13, s17
	s_mul_hi_u32 s16, s12, s14
	s_addc_u32 s13, s15, s18
	s_addc_u32 s15, s16, 0
	s_mul_i32 s14, s12, s14
	s_add_u32 s13, s13, s14
	s_addc_u32 s14, 0, s15
	v_add_co_u32_e32 v6, vcc, s13, v6
	s_cmp_lg_u64 vcc, 0
	s_addc_u32 s12, s12, s14
	v_readfirstlane_b32 s14, v6
	s_mul_i32 s13, s2, s12
	s_mul_hi_u32 s15, s2, s14
	s_add_i32 s13, s15, s13
	s_mul_i32 s3, s3, s14
	s_add_i32 s13, s13, s3
	s_mul_i32 s2, s2, s14
	s_mul_hi_u32 s15, s12, s2
	s_mul_i32 s16, s12, s2
	s_mul_i32 s18, s14, s13
	s_mul_hi_u32 s2, s14, s2
	s_mul_hi_u32 s17, s14, s13
	s_add_u32 s2, s2, s18
	s_addc_u32 s14, 0, s17
	s_add_u32 s2, s2, s16
	s_mul_hi_u32 s3, s12, s13
	s_addc_u32 s2, s14, s15
	s_addc_u32 s3, s3, 0
	s_mul_i32 s13, s12, s13
	s_add_u32 s2, s2, s13
	s_addc_u32 s3, 0, s3
	v_add_co_u32_e32 v6, vcc, s2, v6
	s_cmp_lg_u64 vcc, 0
	s_addc_u32 s2, s12, s3
	v_readfirstlane_b32 s13, v6
	s_mul_i32 s12, s8, s2
	s_mul_hi_u32 s14, s8, s13
	s_mul_hi_u32 s3, s8, s2
	s_add_u32 s12, s14, s12
	s_addc_u32 s3, 0, s3
	s_mul_hi_u32 s15, s9, s13
	s_mul_i32 s13, s9, s13
	s_add_u32 s12, s12, s13
	s_mul_hi_u32 s14, s9, s2
	s_addc_u32 s3, s3, s15
	s_addc_u32 s12, s14, 0
	s_mul_i32 s2, s9, s2
	s_add_u32 s13, s3, s2
	s_addc_u32 s12, 0, s12
	s_mul_i32 s2, s46, s12
	s_mul_hi_u32 s3, s46, s13
	s_add_i32 s2, s3, s2
	s_mul_i32 s3, s47, s13
	s_add_i32 s14, s2, s3
	s_mul_i32 s3, s46, s13
	v_mov_b32_e32 v6, s3
	s_sub_i32 s2, s9, s14
	v_sub_co_u32_e32 v6, vcc, s8, v6
	s_cmp_lg_u64 vcc, 0
	s_subb_u32 s15, s2, s47
	v_subrev_co_u32_e64 v7, s[2:3], s46, v6
	s_cmp_lg_u64 s[2:3], 0
	s_subb_u32 s15, s15, 0
	s_cmp_ge_u32 s15, s47
	s_cselect_b32 s16, -1, 0
	v_cmp_le_u32_e64 s[2:3], s46, v7
	s_cmp_eq_u32 s15, s47
	v_cndmask_b32_e64 v7, 0, -1, s[2:3]
	v_mov_b32_e32 v8, s16
	s_cselect_b64 s[2:3], -1, 0
	v_cndmask_b32_e64 v7, v8, v7, s[2:3]
	s_add_u32 s2, s13, 1
	s_addc_u32 s15, s12, 0
	s_add_u32 s3, s13, 2
	s_addc_u32 s16, s12, 0
	v_mov_b32_e32 v8, s2
	v_mov_b32_e32 v9, s3
	v_cmp_ne_u32_e64 s[2:3], 0, v7
	v_cndmask_b32_e64 v8, v8, v9, s[2:3]
	v_mov_b32_e32 v7, s15
	v_mov_b32_e32 v9, s16
	s_cmp_lg_u64 vcc, 0
	v_cndmask_b32_e64 v7, v7, v9, s[2:3]
	s_subb_u32 s2, s9, s14
	s_cmp_ge_u32 s2, s47
	s_cselect_b32 s3, -1, 0
	v_cmp_le_u32_e32 vcc, s46, v6
	s_cmp_eq_u32 s2, s47
	v_cndmask_b32_e64 v6, 0, -1, vcc
	v_mov_b32_e32 v9, s3
	s_cselect_b64 vcc, -1, 0
	v_cndmask_b32_e32 v6, v9, v6, vcc
	v_mov_b32_e32 v9, s12
	v_cmp_ne_u32_e32 vcc, 0, v6
	v_mov_b32_e32 v6, s13
	v_cndmask_b32_e32 v7, v9, v7, vcc
	v_cndmask_b32_e32 v6, v6, v8, vcc
	s_cbranch_execnz .LBB6_218
.LBB6_217:
	v_cvt_f32_u32_e32 v6, s46
	s_sub_i32 s2, 0, s46
	s_mov_b32 s3, 0
	v_rcp_iflag_f32_e32 v6, v6
	v_mul_f32_e32 v6, 0x4f7ffffe, v6
	v_cvt_u32_f32_e32 v6, v6
	v_readfirstlane_b32 s9, v6
	s_mul_i32 s2, s2, s9
	s_mul_hi_u32 s2, s9, s2
	s_add_i32 s9, s9, s2
	s_mul_hi_u32 s2, s8, s9
	s_mul_i32 s10, s2, s46
	s_sub_i32 s8, s8, s10
	s_add_i32 s9, s2, 1
	s_sub_i32 s10, s8, s46
	s_cmp_ge_u32 s8, s46
	s_cselect_b32 s2, s9, s2
	s_cselect_b32 s8, s10, s8
	s_add_i32 s9, s2, 1
	s_cmp_ge_u32 s8, s46
	s_cselect_b32 s2, s9, s2
	v_pk_mov_b32 v[6:7], s[2:3], s[2:3] op_sel:[0,1]
.LBB6_218:
	s_cbranch_execnz .LBB6_222
.LBB6_219:
	s_or_b64 s[2:3], s[44:45], s[46:47]
	s_mov_b32 s2, 0
	s_cmp_lg_u64 s[2:3], 0
	s_cbranch_scc0 .LBB6_305
; %bb.220:
	v_cvt_f32_u32_e32 v6, s46
	v_cvt_f32_u32_e32 v7, s47
	s_sub_u32 s2, 0, s46
	s_subb_u32 s3, 0, s47
	v_madmk_f32 v6, v7, 0x4f800000, v6
	v_rcp_f32_e32 v6, v6
	v_mul_f32_e32 v6, 0x5f7ffffc, v6
	v_mul_f32_e32 v7, 0x2f800000, v6
	v_trunc_f32_e32 v7, v7
	v_madmk_f32 v6, v7, 0xcf800000, v6
	v_cvt_u32_f32_e32 v7, v7
	v_cvt_u32_f32_e32 v6, v6
	v_readfirstlane_b32 s10, v7
	v_readfirstlane_b32 s11, v6
	s_mul_i32 s12, s2, s10
	s_mul_hi_u32 s14, s2, s11
	s_mul_i32 s13, s3, s11
	s_add_i32 s12, s14, s12
	s_add_i32 s12, s12, s13
	s_mul_i32 s15, s2, s11
	s_mul_hi_u32 s13, s11, s12
	s_mul_i32 s14, s11, s12
	s_mul_hi_u32 s11, s11, s15
	s_add_u32 s11, s11, s14
	s_addc_u32 s13, 0, s13
	s_mul_hi_u32 s16, s10, s15
	s_mul_i32 s15, s10, s15
	s_add_u32 s11, s11, s15
	s_mul_hi_u32 s14, s10, s12
	s_addc_u32 s11, s13, s16
	s_addc_u32 s13, s14, 0
	s_mul_i32 s12, s10, s12
	s_add_u32 s11, s11, s12
	s_addc_u32 s12, 0, s13
	v_add_co_u32_e32 v6, vcc, s11, v6
	s_cmp_lg_u64 vcc, 0
	s_addc_u32 s10, s10, s12
	v_readfirstlane_b32 s12, v6
	s_mul_i32 s11, s2, s10
	s_mul_hi_u32 s13, s2, s12
	s_add_i32 s11, s13, s11
	s_mul_i32 s3, s3, s12
	s_add_i32 s11, s11, s3
	s_mul_i32 s2, s2, s12
	s_mul_hi_u32 s13, s10, s2
	s_mul_i32 s14, s10, s2
	s_mul_i32 s16, s12, s11
	s_mul_hi_u32 s2, s12, s2
	s_mul_hi_u32 s15, s12, s11
	s_add_u32 s2, s2, s16
	s_addc_u32 s12, 0, s15
	s_add_u32 s2, s2, s14
	s_mul_hi_u32 s3, s10, s11
	s_addc_u32 s2, s12, s13
	s_addc_u32 s3, s3, 0
	s_mul_i32 s11, s10, s11
	s_add_u32 s2, s2, s11
	s_addc_u32 s3, 0, s3
	v_add_co_u32_e32 v6, vcc, s2, v6
	s_cmp_lg_u64 vcc, 0
	s_addc_u32 s2, s10, s3
	v_readfirstlane_b32 s11, v6
	s_mul_i32 s10, s44, s2
	s_mul_hi_u32 s12, s44, s11
	s_mul_hi_u32 s3, s44, s2
	s_add_u32 s10, s12, s10
	s_addc_u32 s3, 0, s3
	s_mul_hi_u32 s13, s45, s11
	s_mul_i32 s11, s45, s11
	s_add_u32 s10, s10, s11
	s_mul_hi_u32 s12, s45, s2
	s_addc_u32 s3, s3, s13
	s_addc_u32 s10, s12, 0
	s_mul_i32 s2, s45, s2
	s_add_u32 s11, s3, s2
	s_addc_u32 s10, 0, s10
	s_mul_i32 s2, s46, s10
	s_mul_hi_u32 s3, s46, s11
	s_add_i32 s2, s3, s2
	s_mul_i32 s3, s47, s11
	s_add_i32 s12, s2, s3
	s_mul_i32 s3, s46, s11
	v_mov_b32_e32 v6, s3
	s_sub_i32 s2, s45, s12
	v_sub_co_u32_e32 v6, vcc, s44, v6
	s_cmp_lg_u64 vcc, 0
	s_subb_u32 s13, s2, s47
	v_subrev_co_u32_e64 v7, s[2:3], s46, v6
	s_cmp_lg_u64 s[2:3], 0
	s_subb_u32 s13, s13, 0
	s_cmp_ge_u32 s13, s47
	s_cselect_b32 s14, -1, 0
	v_cmp_le_u32_e64 s[2:3], s46, v7
	s_cmp_eq_u32 s13, s47
	v_cndmask_b32_e64 v7, 0, -1, s[2:3]
	v_mov_b32_e32 v8, s14
	s_cselect_b64 s[2:3], -1, 0
	v_cndmask_b32_e64 v7, v8, v7, s[2:3]
	s_add_u32 s2, s11, 1
	s_addc_u32 s13, s10, 0
	s_add_u32 s3, s11, 2
	s_addc_u32 s14, s10, 0
	v_mov_b32_e32 v8, s2
	v_mov_b32_e32 v9, s3
	v_cmp_ne_u32_e64 s[2:3], 0, v7
	v_cndmask_b32_e64 v8, v8, v9, s[2:3]
	v_mov_b32_e32 v7, s13
	v_mov_b32_e32 v9, s14
	s_cmp_lg_u64 vcc, 0
	v_cndmask_b32_e64 v7, v7, v9, s[2:3]
	s_subb_u32 s2, s45, s12
	s_cmp_ge_u32 s2, s47
	s_cselect_b32 s3, -1, 0
	v_cmp_le_u32_e32 vcc, s46, v6
	s_cmp_eq_u32 s2, s47
	v_cndmask_b32_e64 v6, 0, -1, vcc
	v_mov_b32_e32 v9, s3
	s_cselect_b64 vcc, -1, 0
	v_cndmask_b32_e32 v6, v9, v6, vcc
	v_mov_b32_e32 v9, s10
	v_cmp_ne_u32_e32 vcc, 0, v6
	v_mov_b32_e32 v6, s11
	v_cndmask_b32_e32 v7, v9, v7, vcc
	v_cndmask_b32_e32 v6, v6, v8, vcc
	s_cbranch_execnz .LBB6_222
.LBB6_221:
	v_cvt_f32_u32_e32 v6, s46
	s_sub_i32 s2, 0, s46
	s_mov_b32 s3, 0
	v_rcp_iflag_f32_e32 v6, v6
	v_mul_f32_e32 v6, 0x4f7ffffe, v6
	v_cvt_u32_f32_e32 v6, v6
	v_readfirstlane_b32 s8, v6
	s_mul_i32 s2, s2, s8
	s_mul_hi_u32 s2, s8, s2
	s_add_i32 s8, s8, s2
	s_mul_hi_u32 s2, s44, s8
	s_mul_i32 s9, s2, s46
	s_sub_i32 s9, s44, s9
	s_add_i32 s8, s2, 1
	s_sub_i32 s10, s9, s46
	s_cmp_ge_u32 s9, s46
	s_cselect_b32 s2, s8, s2
	s_cselect_b32 s9, s10, s9
	s_add_i32 s8, s2, 1
	s_cmp_ge_u32 s9, s46
	s_cselect_b32 s2, s8, s2
	v_pk_mov_b32 v[6:7], s[2:3], s[2:3] op_sel:[0,1]
.LBB6_222:
	s_movk_i32 s2, 0xff98
	v_mad_i32_i24 v1, v0, s2, v1
	v_cmp_ne_u32_e32 vcc, 0, v0
	s_waitcnt lgkmcnt(0)
	ds_write_b64 v1, v[24:25] offset:28672
	s_waitcnt lgkmcnt(0)
	s_barrier
	s_and_saveexec_b64 s[2:3], vcc
	s_cbranch_execz .LBB6_224
; %bb.223:
	ds_read_b64 v[6:7], v1 offset:28664
.LBB6_224:
	s_or_b64 exec, exec, s[2:3]
	v_lshlrev_b32_e32 v8, 2, v0
	v_mov_b32_e32 v9, s55
	v_add_co_u32_e32 v8, vcc, s7, v8
	v_addc_co_u32_e32 v9, vcc, 0, v9, vcc
	s_movk_i32 s2, 0x1000
	v_add_co_u32_e32 v34, vcc, s2, v8
	v_addc_co_u32_e32 v35, vcc, 0, v9, vcc
	s_movk_i32 s2, 0x2000
	s_waitcnt lgkmcnt(0)
	s_barrier
	flat_load_dword v36, v[8:9]
	flat_load_dword v37, v[8:9] offset:1024
	flat_load_dword v38, v[8:9] offset:2048
	;; [unrolled: 1-line block ×3, first 2 shown]
	flat_load_dword v40, v[34:35]
	flat_load_dword v41, v[34:35] offset:1024
	flat_load_dword v42, v[34:35] offset:2048
	;; [unrolled: 1-line block ×3, first 2 shown]
	v_add_co_u32_e32 v34, vcc, s2, v8
	v_addc_co_u32_e32 v35, vcc, 0, v9, vcc
	s_movk_i32 s2, 0x3000
	v_add_co_u32_e32 v8, vcc, s2, v8
	v_addc_co_u32_e32 v9, vcc, 0, v9, vcc
	flat_load_dword v44, v[34:35]
	flat_load_dword v45, v[34:35] offset:1024
	flat_load_dword v46, v[34:35] offset:2048
	;; [unrolled: 1-line block ×3, first 2 shown]
	flat_load_dword v48, v[8:9]
	flat_load_dword v49, v[8:9] offset:1024
	v_cmp_ne_u64_e32 vcc, v[6:7], v[14:15]
	v_cndmask_b32_e64 v57, 0, 1, vcc
	v_cmp_ne_u64_e32 vcc, v[4:5], v[30:31]
	v_cndmask_b32_e64 v9, 0, 1, vcc
	;; [unrolled: 2-line block ×4, first 2 shown]
	v_cmp_ne_u64_e32 vcc, v[14:15], v[16:17]
	v_lshlrev_b32_e32 v8, 2, v0
	v_cndmask_b32_e64 v3, 0, 1, vcc
	v_cmp_ne_u64_e32 vcc, v[12:13], v[26:27]
	v_cndmask_b32_e64 v17, 0, 1, vcc
	v_cmp_ne_u64_e32 vcc, v[10:11], v[12:13]
	v_sub_u32_e32 v1, v1, v8
	v_cmp_ne_u64_e64 s[2:3], v[22:23], v[24:25]
	v_cndmask_b32_e64 v15, 0, 1, vcc
	v_cmp_ne_u64_e32 vcc, v[32:33], v[10:11]
	v_mad_u32_u24 v24, v0, 52, v1
	v_cndmask_b32_e64 v13, 0, 1, vcc
	v_cmp_ne_u64_e32 vcc, v[30:31], v[32:33]
	v_cndmask_b32_e64 v11, 0, 1, vcc
	v_cmp_ne_u64_e32 vcc, v[20:21], v[22:23]
	;; [unrolled: 2-line block ×5, first 2 shown]
	v_cndmask_b32_e64 v19, 0, 1, vcc
	s_mov_b64 s[20:21], -1
                                        ; implicit-def: $sgpr16_sgpr17
	s_waitcnt vmcnt(0) lgkmcnt(0)
	ds_write2st64_b32 v1, v36, v37 offset1:4
	ds_write2st64_b32 v1, v38, v39 offset0:8 offset1:12
	ds_write2st64_b32 v1, v40, v41 offset0:16 offset1:20
	;; [unrolled: 1-line block ×6, first 2 shown]
	s_waitcnt lgkmcnt(0)
	s_barrier
	ds_read2_b32 v[58:59], v24 offset1:13
	ds_read2_b32 v[30:31], v24 offset0:7 offset1:8
	ds_read2_b32 v[32:33], v24 offset0:5 offset1:6
	;; [unrolled: 1-line block ×4, first 2 shown]
	s_waitcnt lgkmcnt(4)
	v_mov_b32_e32 v56, v58
	s_waitcnt lgkmcnt(3)
	v_mov_b32_e32 v14, v30
	;; [unrolled: 2-line block ×3, first 2 shown]
	v_mov_b32_e32 v12, v33
	v_mov_b32_e32 v16, v31
	ds_read2_b32 v[30:31], v24 offset0:11 offset1:12
	ds_read2_b32 v[32:33], v24 offset0:9 offset1:10
	s_waitcnt lgkmcnt(2)
	v_mov_b32_e32 v2, v36
	v_mov_b32_e32 v4, v37
	;; [unrolled: 1-line block ×4, first 2 shown]
	s_waitcnt lgkmcnt(0)
	v_mov_b32_e32 v18, v32
	v_mov_b32_e32 v20, v33
	;; [unrolled: 1-line block ×4, first 2 shown]
.LBB6_225:
	v_pk_mov_b32 v[38:39], s[16:17], s[16:17] op_sel:[0,1]
	s_and_saveexec_b64 s[8:9], s[20:21]
	s_cbranch_execz .LBB6_227
; %bb.226:
	v_cndmask_b32_e64 v39, 0, 1, s[2:3]
	s_waitcnt lgkmcnt(0)
	v_mov_b32_e32 v38, v59
.LBB6_227:
	s_or_b64 exec, exec, s[8:9]
	s_load_dwordx2 s[36:37], s[4:5], 0x20
	s_mov_b32 s26, 0
	s_cmp_lg_u32 s6, 0
	v_mbcnt_lo_u32_b32 v49, -1, 0
	v_lshrrev_b32_e32 v1, 6, v0
	v_or_b32_e32 v48, 63, v0
	s_waitcnt lgkmcnt(0)
	s_barrier
	s_cbranch_scc0 .LBB6_256
; %bb.228:
	s_mov_b32 s27, 1
	v_cmp_gt_u64_e64 s[2:3], s[26:27], v[2:3]
	v_cndmask_b32_e64 v27, 0, v56, s[2:3]
	v_add_u32_e32 v27, v27, v2
	v_cmp_gt_u64_e64 s[4:5], s[26:27], v[4:5]
	v_cndmask_b32_e64 v27, 0, v27, s[4:5]
	v_add_u32_e32 v27, v27, v4
	;; [unrolled: 3-line block ×13, first 2 shown]
	v_or3_b32 v27, v39, v25, v23
	v_or3_b32 v27, v27, v21, v19
	;; [unrolled: 1-line block ×6, first 2 shown]
	v_mov_b32_e32 v26, 0
	v_and_b32_e32 v27, 1, v27
	v_cmp_eq_u64_e32 vcc, 0, v[26:27]
	v_cndmask_b32_e32 v26, 1, v57, vcc
	v_mbcnt_hi_u32_b32 v44, -1, v49
	v_mov_b32_dpp v29, v28 row_shr:1 row_mask:0xf bank_mask:0xf
	v_mov_b32_dpp v30, v26 row_shr:1 row_mask:0xf bank_mask:0xf
	v_cmp_eq_u32_e32 vcc, 0, v26
	v_and_b32_e32 v31, 1, v26
	v_and_b32_e32 v27, 15, v44
	v_cndmask_b32_e32 v29, 0, v29, vcc
	v_and_b32_e32 v30, 1, v30
	v_cmp_eq_u32_e32 vcc, 1, v31
	v_cndmask_b32_e64 v30, v30, 1, vcc
	v_cmp_eq_u32_e32 vcc, 0, v27
	v_cndmask_b32_e32 v26, v30, v26, vcc
	v_and_b32_e32 v31, 1, v26
	v_cmp_eq_u32_e64 s[28:29], 1, v31
	v_mov_b32_dpp v30, v26 row_shr:2 row_mask:0xf bank_mask:0xf
	v_and_b32_e32 v30, 1, v30
	v_cndmask_b32_e64 v30, v30, 1, s[28:29]
	v_cmp_lt_u32_e64 s[28:29], 1, v27
	v_cndmask_b32_e64 v29, v29, 0, vcc
	v_cmp_eq_u32_e32 vcc, 0, v26
	v_cndmask_b32_e64 v26, v26, v30, s[28:29]
	v_add_u32_e32 v28, v29, v28
	v_and_b32_e32 v31, 1, v26
	v_mov_b32_dpp v30, v26 row_shr:4 row_mask:0xf bank_mask:0xf
	v_mov_b32_dpp v29, v28 row_shr:2 row_mask:0xf bank_mask:0xf
	s_and_b64 vcc, s[28:29], vcc
	v_and_b32_e32 v30, 1, v30
	v_cmp_eq_u32_e64 s[28:29], 1, v31
	v_cndmask_b32_e32 v29, 0, v29, vcc
	v_cndmask_b32_e64 v30, v30, 1, s[28:29]
	v_cmp_lt_u32_e64 s[28:29], 3, v27
	v_add_u32_e32 v28, v29, v28
	v_cmp_eq_u32_e32 vcc, 0, v26
	v_cndmask_b32_e64 v26, v26, v30, s[28:29]
	v_mov_b32_dpp v29, v28 row_shr:4 row_mask:0xf bank_mask:0xf
	s_and_b64 vcc, s[28:29], vcc
	v_mov_b32_dpp v30, v26 row_shr:8 row_mask:0xf bank_mask:0xf
	v_and_b32_e32 v31, 1, v26
	v_cndmask_b32_e32 v29, 0, v29, vcc
	v_and_b32_e32 v30, 1, v30
	v_cmp_eq_u32_e64 s[28:29], 1, v31
	v_add_u32_e32 v28, v29, v28
	v_cmp_eq_u32_e32 vcc, 0, v26
	v_cndmask_b32_e64 v30, v30, 1, s[28:29]
	v_cmp_lt_u32_e64 s[28:29], 7, v27
	v_mov_b32_dpp v29, v28 row_shr:8 row_mask:0xf bank_mask:0xf
	s_and_b64 vcc, s[28:29], vcc
	v_cndmask_b32_e32 v27, 0, v29, vcc
	v_cndmask_b32_e64 v26, v26, v30, s[28:29]
	v_add_u32_e32 v27, v27, v28
	v_cmp_eq_u32_e32 vcc, 0, v26
	v_mov_b32_dpp v29, v26 row_bcast:15 row_mask:0xf bank_mask:0xf
	v_mov_b32_dpp v28, v27 row_bcast:15 row_mask:0xf bank_mask:0xf
	v_and_b32_e32 v32, 1, v26
	v_and_b32_e32 v31, 16, v44
	v_cndmask_b32_e32 v28, 0, v28, vcc
	v_and_b32_e32 v29, 1, v29
	v_cmp_eq_u32_e32 vcc, 1, v32
	v_bfe_i32 v30, v44, 4, 1
	v_cndmask_b32_e64 v29, v29, 1, vcc
	v_cmp_eq_u32_e32 vcc, 0, v31
	v_and_b32_e32 v28, v30, v28
	v_cndmask_b32_e32 v26, v29, v26, vcc
	v_add_u32_e32 v27, v28, v27
	v_and_b32_e32 v30, 1, v26
	v_mov_b32_dpp v28, v26 row_bcast:31 row_mask:0xf bank_mask:0xf
	v_and_b32_e32 v28, 1, v28
	v_cmp_eq_u32_e64 s[28:29], 1, v30
	v_cmp_eq_u32_e32 vcc, 0, v26
	v_cndmask_b32_e64 v28, v28, 1, s[28:29]
	v_cmp_lt_u32_e64 s[28:29], 31, v44
	v_mov_b32_dpp v29, v27 row_bcast:31 row_mask:0xf bank_mask:0xf
	s_and_b64 vcc, s[28:29], vcc
	v_cndmask_b32_e64 v28, v26, v28, s[28:29]
	v_cndmask_b32_e32 v26, 0, v29, vcc
	v_add_u32_e32 v29, v26, v27
	v_cmp_eq_u32_e32 vcc, v48, v0
	s_and_saveexec_b64 s[28:29], vcc
	s_cbranch_execz .LBB6_230
; %bb.229:
	v_lshlrev_b32_e32 v26, 3, v1
	ds_write_b32 v26, v29
	ds_write_b8 v26, v28 offset:4
.LBB6_230:
	s_or_b64 exec, exec, s[28:29]
	v_cmp_gt_u32_e32 vcc, 4, v0
	s_waitcnt lgkmcnt(0)
	s_barrier
	s_and_saveexec_b64 s[28:29], vcc
	s_cbranch_execz .LBB6_234
; %bb.231:
	v_lshlrev_b32_e32 v30, 3, v0
	ds_read_b64 v[26:27], v30
	v_and_b32_e32 v31, 3, v44
	v_cmp_ne_u32_e32 vcc, 0, v31
	s_waitcnt lgkmcnt(0)
	v_mov_b32_dpp v32, v26 row_shr:1 row_mask:0xf bank_mask:0xf
	v_mov_b32_dpp v34, v27 row_shr:1 row_mask:0xf bank_mask:0xf
	v_mov_b32_e32 v33, v27
	s_and_saveexec_b64 s[34:35], vcc
	s_cbranch_execz .LBB6_233
; %bb.232:
	v_and_b32_e32 v33, 1, v27
	v_and_b32_e32 v34, 1, v34
	v_cmp_eq_u32_e32 vcc, 1, v33
	v_mov_b32_e32 v33, 0
	v_cndmask_b32_e64 v34, v34, 1, vcc
	v_cmp_eq_u16_sdwa vcc, v27, v33 src0_sel:BYTE_0 src1_sel:DWORD
	v_cndmask_b32_e32 v32, 0, v32, vcc
	v_add_u32_e32 v26, v32, v26
	v_and_b32_e32 v32, 0xffff, v34
	s_movk_i32 s7, 0xff00
	v_and_or_b32 v33, v27, s7, v32
	v_mov_b32_e32 v27, v34
.LBB6_233:
	s_or_b64 exec, exec, s[34:35]
	v_mov_b32_dpp v33, v33 row_shr:2 row_mask:0xf bank_mask:0xf
	v_and_b32_e32 v34, 1, v27
	v_and_b32_e32 v33, 1, v33
	v_cmp_eq_u32_e32 vcc, 1, v34
	v_mov_b32_e32 v34, 0
	v_cndmask_b32_e64 v33, v33, 1, vcc
	v_cmp_eq_u16_sdwa s[34:35], v27, v34 src0_sel:BYTE_0 src1_sel:DWORD
	v_cmp_lt_u32_e32 vcc, 1, v31
	v_mov_b32_dpp v32, v26 row_shr:2 row_mask:0xf bank_mask:0xf
	v_cndmask_b32_e32 v27, v27, v33, vcc
	s_and_b64 vcc, vcc, s[34:35]
	v_cndmask_b32_e32 v31, 0, v32, vcc
	v_add_u32_e32 v26, v31, v26
	ds_write_b32 v30, v26
	ds_write_b8 v30, v27 offset:4
.LBB6_234:
	s_or_b64 exec, exec, s[28:29]
	v_cmp_gt_u32_e32 vcc, 64, v0
	v_cmp_lt_u32_e64 s[28:29], 63, v0
	v_mov_b32_e32 v40, 0
	v_mov_b32_e32 v41, 0
	s_waitcnt lgkmcnt(0)
	s_barrier
	s_and_saveexec_b64 s[34:35], s[28:29]
	s_cbranch_execz .LBB6_236
; %bb.235:
	v_lshl_add_u32 v26, v1, 3, -8
	ds_read_b32 v40, v26
	ds_read_u8 v41, v26 offset:4
	v_and_b32_e32 v27, 1, v28
	v_cmp_eq_u32_e64 s[28:29], 0, v28
	s_waitcnt lgkmcnt(1)
	v_cndmask_b32_e64 v26, 0, v40, s[28:29]
	v_cmp_eq_u32_e64 s[28:29], 1, v27
	v_add_u32_e32 v29, v26, v29
	s_waitcnt lgkmcnt(0)
	v_cndmask_b32_e64 v28, v41, 1, s[28:29]
.LBB6_236:
	s_or_b64 exec, exec, s[34:35]
	v_add_u32_e32 v26, -1, v44
	v_and_b32_e32 v27, 64, v44
	v_cmp_lt_i32_e64 s[28:29], v26, v27
	v_cndmask_b32_e64 v26, v26, v44, s[28:29]
	v_lshlrev_b32_e32 v26, 2, v26
	ds_bpermute_b32 v42, v26, v29
	ds_bpermute_b32 v43, v26, v28
	v_cmp_eq_u32_e64 s[28:29], 0, v44
	s_and_saveexec_b64 s[42:43], vcc
	s_cbranch_execz .LBB6_255
; %bb.237:
	v_mov_b32_e32 v29, 0
	ds_read_b64 v[26:27], v29 offset:24
	s_waitcnt lgkmcnt(0)
	v_readfirstlane_b32 s7, v27
	s_and_saveexec_b64 s[34:35], s[28:29]
	s_cbranch_execz .LBB6_239
; %bb.238:
	s_add_i32 s44, s6, 64
	s_mov_b32 s45, 0
	s_lshl_b64 s[46:47], s[44:45], 4
	s_add_u32 s46, s52, s46
	s_addc_u32 s47, s53, s47
	s_and_b32 s49, s7, 0xff000000
	s_mov_b32 s48, s45
	s_and_b32 s51, s7, 0xff0000
	s_mov_b32 s50, s45
	s_or_b64 s[48:49], s[50:51], s[48:49]
	s_and_b32 s51, s7, 0xff00
	s_or_b64 s[48:49], s[48:49], s[50:51]
	s_and_b32 s51, s7, 0xff
	s_or_b64 s[44:45], s[48:49], s[50:51]
	v_mov_b32_e32 v27, s45
	v_mov_b32_e32 v28, 1
	v_pk_mov_b32 v[30:31], s[46:47], s[46:47] op_sel:[0,1]
	;;#ASMSTART
	global_store_dwordx4 v[30:31], v[26:29] off	
s_waitcnt vmcnt(0)
	;;#ASMEND
.LBB6_239:
	s_or_b64 exec, exec, s[34:35]
	v_xad_u32 v34, v44, -1, s6
	v_add_u32_e32 v28, 64, v34
	v_lshlrev_b64 v[30:31], 4, v[28:29]
	v_mov_b32_e32 v27, s53
	v_add_co_u32_e32 v36, vcc, s52, v30
	v_addc_co_u32_e32 v37, vcc, v27, v31, vcc
	;;#ASMSTART
	global_load_dwordx4 v[30:33], v[36:37] off glc	
s_waitcnt vmcnt(0)
	;;#ASMEND
	v_and_b32_e32 v27, 0xff0000, v30
	v_or_b32_sdwa v27, v30, v27 dst_sel:DWORD dst_unused:UNUSED_PAD src0_sel:WORD_0 src1_sel:DWORD
	v_and_b32_e32 v28, 0xff000000, v30
	v_and_b32_e32 v30, 0xff, v31
	v_or3_b32 v31, 0, 0, v30
	v_or3_b32 v30, v27, v28, 0
	v_cmp_eq_u16_sdwa s[44:45], v32, v29 src0_sel:BYTE_0 src1_sel:DWORD
	s_and_saveexec_b64 s[34:35], s[44:45]
	s_cbranch_execz .LBB6_243
; %bb.240:
	s_mov_b64 s[44:45], 0
	v_mov_b32_e32 v27, 0
.LBB6_241:                              ; =>This Inner Loop Header: Depth=1
	;;#ASMSTART
	global_load_dwordx4 v[30:33], v[36:37] off glc	
s_waitcnt vmcnt(0)
	;;#ASMEND
	v_cmp_ne_u16_sdwa s[46:47], v32, v27 src0_sel:BYTE_0 src1_sel:DWORD
	s_or_b64 s[44:45], s[46:47], s[44:45]
	s_andn2_b64 exec, exec, s[44:45]
	s_cbranch_execnz .LBB6_241
; %bb.242:
	s_or_b64 exec, exec, s[44:45]
	v_and_b32_e32 v31, 0xff, v31
.LBB6_243:
	s_or_b64 exec, exec, s[34:35]
	v_mov_b32_e32 v27, 2
	v_cmp_eq_u16_sdwa s[34:35], v32, v27 src0_sel:BYTE_0 src1_sel:DWORD
	v_lshlrev_b64 v[28:29], v44, -1
	v_and_b32_e32 v33, s35, v29
	v_or_b32_e32 v33, 0x80000000, v33
	v_and_b32_e32 v35, s34, v28
	v_ffbl_b32_e32 v33, v33
	v_and_b32_e32 v45, 63, v44
	v_add_u32_e32 v33, 32, v33
	v_ffbl_b32_e32 v35, v35
	v_cmp_ne_u32_e32 vcc, 63, v45
	v_min_u32_e32 v33, v35, v33
	v_addc_co_u32_e32 v35, vcc, 0, v44, vcc
	v_lshlrev_b32_e32 v46, 2, v35
	ds_bpermute_b32 v35, v46, v31
	ds_bpermute_b32 v36, v46, v30
	s_mov_b32 s44, 0
	v_and_b32_e32 v37, 1, v31
	s_mov_b32 s45, 1
	s_waitcnt lgkmcnt(1)
	v_and_b32_e32 v35, 1, v35
	v_cmp_eq_u32_e32 vcc, 1, v37
	v_cndmask_b32_e64 v35, v35, 1, vcc
	v_cmp_gt_u64_e32 vcc, s[44:45], v[30:31]
	v_cmp_lt_u32_e64 s[34:35], v45, v33
	s_and_b64 vcc, s[34:35], vcc
	v_and_b32_e32 v37, 0xffff, v35
	v_cndmask_b32_e64 v51, v31, v35, s[34:35]
	s_waitcnt lgkmcnt(0)
	v_cndmask_b32_e32 v35, 0, v36, vcc
	v_cmp_gt_u32_e32 vcc, 62, v45
	v_cndmask_b32_e64 v36, 0, 1, vcc
	v_lshlrev_b32_e32 v36, 1, v36
	v_cndmask_b32_e64 v31, v31, v37, s[34:35]
	v_add_lshl_u32 v47, v36, v44, 2
	ds_bpermute_b32 v36, v47, v31
	v_add_u32_e32 v30, v35, v30
	ds_bpermute_b32 v37, v47, v30
	v_and_b32_e32 v35, 1, v51
	v_cmp_eq_u32_e32 vcc, 1, v35
	s_waitcnt lgkmcnt(1)
	v_and_b32_e32 v36, 1, v36
	v_mov_b32_e32 v35, 0
	v_add_u32_e32 v50, 2, v45
	v_cndmask_b32_e64 v36, v36, 1, vcc
	v_cmp_eq_u16_sdwa vcc, v51, v35 src0_sel:BYTE_0 src1_sel:DWORD
	v_and_b32_e32 v52, 0xffff, v36
	s_waitcnt lgkmcnt(0)
	v_cndmask_b32_e32 v37, 0, v37, vcc
	v_cmp_gt_u32_e32 vcc, v50, v33
	v_cndmask_b32_e32 v36, v36, v51, vcc
	v_cndmask_b32_e64 v37, v37, 0, vcc
	v_cndmask_b32_e32 v31, v52, v31, vcc
	v_cmp_gt_u32_e32 vcc, 60, v45
	v_cndmask_b32_e64 v51, 0, 1, vcc
	v_lshlrev_b32_e32 v51, 2, v51
	v_add_lshl_u32 v51, v51, v44, 2
	ds_bpermute_b32 v53, v51, v31
	v_add_u32_e32 v30, v37, v30
	ds_bpermute_b32 v37, v51, v30
	v_and_b32_e32 v54, 1, v36
	v_cmp_eq_u32_e32 vcc, 1, v54
	s_waitcnt lgkmcnt(1)
	v_and_b32_e32 v53, 1, v53
	v_add_u32_e32 v52, 4, v45
	v_cndmask_b32_e64 v53, v53, 1, vcc
	v_cmp_eq_u16_sdwa vcc, v36, v35 src0_sel:BYTE_0 src1_sel:DWORD
	v_and_b32_e32 v54, 0xffff, v53
	s_waitcnt lgkmcnt(0)
	v_cndmask_b32_e32 v37, 0, v37, vcc
	v_cmp_gt_u32_e32 vcc, v52, v33
	v_cndmask_b32_e32 v36, v53, v36, vcc
	v_cndmask_b32_e64 v37, v37, 0, vcc
	v_cndmask_b32_e32 v31, v54, v31, vcc
	v_cmp_gt_u32_e32 vcc, 56, v45
	v_cndmask_b32_e64 v53, 0, 1, vcc
	v_lshlrev_b32_e32 v53, 3, v53
	v_add_lshl_u32 v53, v53, v44, 2
	ds_bpermute_b32 v55, v53, v31
	v_add_u32_e32 v30, v37, v30
	ds_bpermute_b32 v37, v53, v30
	v_and_b32_e32 v58, 1, v36
	v_cmp_eq_u32_e32 vcc, 1, v58
	s_waitcnt lgkmcnt(1)
	v_and_b32_e32 v55, 1, v55
	;; [unrolled: 21-line block ×4, first 2 shown]
	v_add_u32_e32 v61, 32, v45
	v_cndmask_b32_e64 v31, v31, 1, vcc
	v_cmp_eq_u16_sdwa vcc, v36, v35 src0_sel:BYTE_0 src1_sel:DWORD
	s_waitcnt lgkmcnt(0)
	v_cndmask_b32_e32 v37, 0, v37, vcc
	v_cmp_gt_u32_e32 vcc, v61, v33
	v_cndmask_b32_e64 v33, v37, 0, vcc
	v_cndmask_b32_e32 v31, v31, v36, vcc
	v_add_u32_e32 v30, v33, v30
	s_branch .LBB6_245
.LBB6_244:                              ;   in Loop: Header=BB6_245 Depth=1
	s_or_b64 exec, exec, s[34:35]
	v_cmp_eq_u16_sdwa s[34:35], v32, v27 src0_sel:BYTE_0 src1_sel:DWORD
	v_and_b32_e32 v33, s35, v29
	ds_bpermute_b32 v37, v46, v31
	v_or_b32_e32 v33, 0x80000000, v33
	v_and_b32_e32 v36, s34, v28
	v_ffbl_b32_e32 v33, v33
	v_add_u32_e32 v33, 32, v33
	v_ffbl_b32_e32 v36, v36
	v_min_u32_e32 v33, v36, v33
	ds_bpermute_b32 v36, v46, v30
	v_and_b32_e32 v62, 1, v31
	s_waitcnt lgkmcnt(1)
	v_and_b32_e32 v37, 1, v37
	v_cmp_eq_u32_e32 vcc, 1, v62
	v_cndmask_b32_e64 v37, v37, 1, vcc
	v_cmp_gt_u64_e32 vcc, s[44:45], v[30:31]
	v_and_b32_e32 v62, 0xffff, v37
	v_cmp_lt_u32_e64 s[34:35], v45, v33
	v_cndmask_b32_e64 v37, v31, v37, s[34:35]
	v_cndmask_b32_e64 v31, v31, v62, s[34:35]
	s_and_b64 vcc, s[34:35], vcc
	ds_bpermute_b32 v62, v47, v31
	s_waitcnt lgkmcnt(1)
	v_cndmask_b32_e32 v36, 0, v36, vcc
	v_add_u32_e32 v30, v36, v30
	ds_bpermute_b32 v36, v47, v30
	v_and_b32_e32 v63, 1, v37
	s_waitcnt lgkmcnt(1)
	v_and_b32_e32 v62, 1, v62
	v_cmp_eq_u32_e32 vcc, 1, v63
	v_cndmask_b32_e64 v62, v62, 1, vcc
	v_cmp_eq_u16_sdwa vcc, v37, v35 src0_sel:BYTE_0 src1_sel:DWORD
	v_and_b32_e32 v63, 0xffff, v62
	s_waitcnt lgkmcnt(0)
	v_cndmask_b32_e32 v36, 0, v36, vcc
	v_cmp_gt_u32_e32 vcc, v50, v33
	v_cndmask_b32_e32 v31, v63, v31, vcc
	v_cndmask_b32_e32 v37, v62, v37, vcc
	ds_bpermute_b32 v62, v51, v31
	v_cndmask_b32_e64 v36, v36, 0, vcc
	v_add_u32_e32 v30, v36, v30
	ds_bpermute_b32 v36, v51, v30
	v_and_b32_e32 v63, 1, v37
	s_waitcnt lgkmcnt(1)
	v_and_b32_e32 v62, 1, v62
	v_cmp_eq_u32_e32 vcc, 1, v63
	v_cndmask_b32_e64 v62, v62, 1, vcc
	v_cmp_eq_u16_sdwa vcc, v37, v35 src0_sel:BYTE_0 src1_sel:DWORD
	v_and_b32_e32 v63, 0xffff, v62
	s_waitcnt lgkmcnt(0)
	v_cndmask_b32_e32 v36, 0, v36, vcc
	v_cmp_gt_u32_e32 vcc, v52, v33
	v_cndmask_b32_e32 v31, v63, v31, vcc
	v_cndmask_b32_e32 v37, v62, v37, vcc
	ds_bpermute_b32 v62, v53, v31
	v_cndmask_b32_e64 v36, v36, 0, vcc
	v_add_u32_e32 v30, v36, v30
	ds_bpermute_b32 v36, v53, v30
	v_and_b32_e32 v63, 1, v37
	s_waitcnt lgkmcnt(1)
	v_and_b32_e32 v62, 1, v62
	v_cmp_eq_u32_e32 vcc, 1, v63
	v_cndmask_b32_e64 v62, v62, 1, vcc
	v_cmp_eq_u16_sdwa vcc, v37, v35 src0_sel:BYTE_0 src1_sel:DWORD
	v_and_b32_e32 v63, 0xffff, v62
	s_waitcnt lgkmcnt(0)
	v_cndmask_b32_e32 v36, 0, v36, vcc
	v_cmp_gt_u32_e32 vcc, v54, v33
	v_cndmask_b32_e32 v31, v63, v31, vcc
	v_cndmask_b32_e32 v37, v62, v37, vcc
	ds_bpermute_b32 v62, v55, v31
	v_cndmask_b32_e64 v36, v36, 0, vcc
	v_add_u32_e32 v30, v36, v30
	ds_bpermute_b32 v36, v55, v30
	v_and_b32_e32 v63, 1, v37
	s_waitcnt lgkmcnt(1)
	v_and_b32_e32 v62, 1, v62
	v_cmp_eq_u32_e32 vcc, 1, v63
	v_cndmask_b32_e64 v62, v62, 1, vcc
	v_cmp_eq_u16_sdwa vcc, v37, v35 src0_sel:BYTE_0 src1_sel:DWORD
	v_and_b32_e32 v63, 0xffff, v62
	s_waitcnt lgkmcnt(0)
	v_cndmask_b32_e32 v36, 0, v36, vcc
	v_cmp_gt_u32_e32 vcc, v58, v33
	v_cndmask_b32_e64 v36, v36, 0, vcc
	v_cndmask_b32_e32 v31, v63, v31, vcc
	ds_bpermute_b32 v31, v60, v31
	v_add_u32_e32 v30, v36, v30
	ds_bpermute_b32 v36, v60, v30
	v_cndmask_b32_e32 v37, v62, v37, vcc
	v_and_b32_e32 v62, 1, v37
	v_cmp_eq_u32_e32 vcc, 1, v62
	s_waitcnt lgkmcnt(1)
	v_cndmask_b32_e64 v31, v31, 1, vcc
	v_cmp_eq_u16_sdwa vcc, v37, v35 src0_sel:BYTE_0 src1_sel:DWORD
	s_waitcnt lgkmcnt(0)
	v_cndmask_b32_e32 v36, 0, v36, vcc
	v_cmp_gt_u32_e32 vcc, v61, v33
	v_cndmask_b32_e64 v33, v36, 0, vcc
	v_cndmask_b32_e32 v31, v31, v37, vcc
	v_add_u32_e32 v30, v33, v30
	v_cmp_eq_u16_sdwa vcc, v44, v35 src0_sel:BYTE_0 src1_sel:DWORD
	v_and_b32_e32 v33, 1, v44
	v_cndmask_b32_e32 v30, 0, v30, vcc
	v_and_b32_e32 v31, 1, v31
	v_cmp_eq_u32_e32 vcc, 1, v33
	v_subrev_u32_e32 v34, 64, v34
	v_add_u32_e32 v30, v30, v59
	v_cndmask_b32_e64 v31, v31, 1, vcc
.LBB6_245:                              ; =>This Loop Header: Depth=1
                                        ;     Child Loop BB6_248 Depth 2
	v_cmp_ne_u16_sdwa s[34:35], v32, v27 src0_sel:BYTE_0 src1_sel:DWORD
	v_mov_b32_e32 v44, v31
	v_cndmask_b32_e64 v31, 0, 1, s[34:35]
	;;#ASMSTART
	;;#ASMEND
	v_cmp_ne_u32_e32 vcc, 0, v31
	s_cmp_lg_u64 vcc, exec
	v_mov_b32_e32 v59, v30
	s_cbranch_scc1 .LBB6_250
; %bb.246:                              ;   in Loop: Header=BB6_245 Depth=1
	v_lshlrev_b64 v[30:31], 4, v[34:35]
	v_mov_b32_e32 v32, s53
	v_add_co_u32_e32 v36, vcc, s52, v30
	v_addc_co_u32_e32 v37, vcc, v32, v31, vcc
	;;#ASMSTART
	global_load_dwordx4 v[30:33], v[36:37] off glc	
s_waitcnt vmcnt(0)
	;;#ASMEND
	v_and_b32_e32 v33, 0xff0000, v30
	v_or_b32_sdwa v33, v30, v33 dst_sel:DWORD dst_unused:UNUSED_PAD src0_sel:WORD_0 src1_sel:DWORD
	v_and_b32_e32 v30, 0xff000000, v30
	v_and_b32_e32 v31, 0xff, v31
	v_or3_b32 v31, 0, 0, v31
	v_or3_b32 v30, v33, v30, 0
	v_cmp_eq_u16_sdwa s[46:47], v32, v35 src0_sel:BYTE_0 src1_sel:DWORD
	s_and_saveexec_b64 s[34:35], s[46:47]
	s_cbranch_execz .LBB6_244
; %bb.247:                              ;   in Loop: Header=BB6_245 Depth=1
	s_mov_b64 s[46:47], 0
.LBB6_248:                              ;   Parent Loop BB6_245 Depth=1
                                        ; =>  This Inner Loop Header: Depth=2
	;;#ASMSTART
	global_load_dwordx4 v[30:33], v[36:37] off glc	
s_waitcnt vmcnt(0)
	;;#ASMEND
	v_cmp_ne_u16_sdwa s[48:49], v32, v35 src0_sel:BYTE_0 src1_sel:DWORD
	s_or_b64 s[46:47], s[48:49], s[46:47]
	s_andn2_b64 exec, exec, s[46:47]
	s_cbranch_execnz .LBB6_248
; %bb.249:                              ;   in Loop: Header=BB6_245 Depth=1
	s_or_b64 exec, exec, s[46:47]
	v_and_b32_e32 v31, 0xff, v31
	s_branch .LBB6_244
.LBB6_250:                              ;   in Loop: Header=BB6_245 Depth=1
                                        ; implicit-def: $vgpr31
                                        ; implicit-def: $vgpr30
                                        ; implicit-def: $vgpr32
	s_cbranch_execz .LBB6_245
; %bb.251:
	s_and_saveexec_b64 s[34:35], s[28:29]
	s_cbranch_execz .LBB6_253
; %bb.252:
	s_and_b32 s44, s7, 0xff
	s_cmp_eq_u32 s44, 0
	s_cselect_b64 vcc, -1, 0
	s_bitcmp1_b32 s7, 0
	s_mov_b32 s45, 0
	s_cselect_b64 s[46:47], -1, 0
	s_add_i32 s44, s6, 64
	s_lshl_b64 s[6:7], s[44:45], 4
	v_cndmask_b32_e32 v27, 0, v59, vcc
	s_add_u32 s6, s52, s6
	v_add_u32_e32 v26, v27, v26
	v_and_b32_e32 v27, 1, v44
	s_addc_u32 s7, s53, s7
	v_mov_b32_e32 v29, 0
	v_cndmask_b32_e64 v27, v27, 1, s[46:47]
	v_mov_b32_e32 v28, 2
	v_pk_mov_b32 v[30:31], s[6:7], s[6:7] op_sel:[0,1]
	;;#ASMSTART
	global_store_dwordx4 v[30:31], v[26:29] off	
s_waitcnt vmcnt(0)
	;;#ASMEND
.LBB6_253:
	s_or_b64 exec, exec, s[34:35]
	v_cmp_eq_u32_e32 vcc, 0, v0
	s_and_b64 exec, exec, vcc
	s_cbranch_execz .LBB6_255
; %bb.254:
	v_mov_b32_e32 v26, 0
	ds_write_b32 v26, v59 offset:24
	ds_write_b8 v26, v44 offset:28
.LBB6_255:
	s_or_b64 exec, exec, s[42:43]
	s_mov_b32 s6, 0
	v_mov_b32_e32 v28, 0
	s_mov_b32 s7, 1
	s_waitcnt lgkmcnt(0)
	v_cndmask_b32_e64 v26, v43, v41, s[28:29]
	v_cndmask_b32_e64 v27, v42, v40, s[28:29]
	s_barrier
	ds_read_b32 v29, v28 offset:24
	v_cmp_gt_u64_e32 vcc, s[6:7], v[56:57]
	v_and_b32_e32 v30, 1, v57
	v_cndmask_b32_e32 v27, 0, v27, vcc
	v_and_b32_e32 v26, 1, v26
	v_cmp_eq_u32_e32 vcc, 1, v30
	v_cndmask_b32_e64 v26, v26, 1, vcc
	v_cmp_eq_u32_e32 vcc, 0, v0
	v_cndmask_b32_e32 v26, v26, v57, vcc
	v_cndmask_b32_e64 v27, v27, 0, vcc
	v_cmp_eq_u16_sdwa vcc, v26, v28 src0_sel:BYTE_0 src1_sel:DWORD
	s_waitcnt lgkmcnt(0)
	v_cndmask_b32_e32 v26, 0, v29, vcc
	v_add3_u32 v26, v27, v56, v26
	v_cndmask_b32_e64 v27, 0, v26, s[2:3]
	v_add_u32_e32 v27, v27, v2
	v_cndmask_b32_e64 v28, 0, v27, s[4:5]
	v_add_u32_e32 v40, v28, v4
	;; [unrolled: 2-line block ×13, first 2 shown]
	s_branch .LBB6_272
.LBB6_256:
                                        ; implicit-def: $vgpr47
                                        ; implicit-def: $vgpr45
                                        ; implicit-def: $vgpr43
                                        ; implicit-def: $vgpr41
                                        ; implicit-def: $vgpr34_vgpr35_vgpr36_vgpr37
                                        ; implicit-def: $vgpr30_vgpr31_vgpr32_vgpr33
                                        ; implicit-def: $vgpr26_vgpr27_vgpr28_vgpr29
	s_cbranch_execz .LBB6_272
; %bb.257:
	s_cmp_lg_u64 s[58:59], 0
	s_cselect_b32 s5, s39, 0
	s_cselect_b32 s4, s38, 0
	s_cmp_lg_u64 s[4:5], 0
	s_cselect_b64 s[6:7], -1, 0
	v_cmp_eq_u32_e32 vcc, 0, v0
	s_mov_b32 s28, 0
	v_cmp_ne_u32_e64 s[2:3], 0, v0
	s_and_b64 s[8:9], vcc, s[6:7]
	s_and_saveexec_b64 s[6:7], s[8:9]
	s_cbranch_execz .LBB6_259
; %bb.258:
	v_mov_b32_e32 v26, 0
	global_load_dword v28, v26, s[4:5]
	global_load_ubyte v29, v26, s[4:5] offset:4
	s_mov_b32 s29, 1
	v_and_b32_e32 v27, 1, v57
	v_cmp_gt_u64_e64 s[4:5], s[28:29], v[56:57]
	s_waitcnt vmcnt(1)
	v_cndmask_b32_e64 v28, 0, v28, s[4:5]
	s_waitcnt vmcnt(0)
	v_and_b32_e32 v29, 1, v29
	v_cmp_eq_u64_e64 s[4:5], 0, v[26:27]
	v_add_u32_e32 v56, v28, v56
	v_cndmask_b32_e64 v57, 1, v29, s[4:5]
.LBB6_259:
	s_or_b64 exec, exec, s[6:7]
	s_mov_b32 s29, 1
	v_cmp_gt_u64_e64 s[4:5], s[28:29], v[2:3]
	v_cndmask_b32_e64 v26, 0, v56, s[4:5]
	v_add_u32_e32 v27, v26, v2
	v_cmp_gt_u64_e64 s[6:7], s[28:29], v[4:5]
	v_cndmask_b32_e64 v26, 0, v27, s[6:7]
	v_add_u32_e32 v40, v26, v4
	;; [unrolled: 3-line block ×7, first 2 shown]
	v_cmp_gt_u64_e64 s[18:19], s[28:29], v[16:17]
	v_mov_b32_e32 v28, 0
	v_cndmask_b32_e64 v26, 0, v43, s[18:19]
	v_or3_b32 v7, v23, v15, v7
	v_add_u32_e32 v34, v26, v16
	v_cmp_gt_u64_e64 s[20:21], s[28:29], v[18:19]
	v_or3_b32 v9, v25, v17, v9
	v_and_b32_e32 v51, 1, v7
	v_mov_b32_e32 v50, v28
	v_cndmask_b32_e64 v26, 0, v34, s[20:21]
	v_or3_b32 v3, v19, v11, v3
	v_and_b32_e32 v37, 1, v9
	v_mov_b32_e32 v36, v28
	v_cmp_ne_u64_e64 s[34:35], 0, v[50:51]
	v_add_u32_e32 v35, v26, v18
	v_cmp_gt_u64_e64 s[22:23], s[28:29], v[20:21]
	v_or3_b32 v5, v21, v13, v5
	v_and_b32_e32 v29, 1, v3
	v_cndmask_b32_e64 v3, 0, 1, s[34:35]
	v_cmp_ne_u64_e64 s[34:35], 0, v[36:37]
	v_cndmask_b32_e64 v26, 0, v35, s[22:23]
	v_and_b32_e32 v33, 1, v5
	v_mov_b32_e32 v32, v28
	v_cndmask_b32_e64 v5, 0, 1, s[34:35]
	v_add_u32_e32 v44, v26, v20
	v_cmp_gt_u64_e64 s[24:25], s[28:29], v[22:23]
	v_lshlrev_b16_e32 v3, 2, v3
	v_lshlrev_b16_e32 v5, 3, v5
	v_cmp_ne_u64_e64 s[34:35], 0, v[32:33]
	v_cndmask_b32_e64 v26, 0, v44, s[24:25]
	v_or_b32_e32 v3, v5, v3
	v_cndmask_b32_e64 v5, 0, 1, s[34:35]
	v_cmp_ne_u64_e64 s[34:35], 0, v[28:29]
	v_add_u32_e32 v45, v26, v22
	v_cmp_gt_u64_e64 s[26:27], s[28:29], v[24:25]
	v_lshlrev_b16_e32 v5, 1, v5
	v_cndmask_b32_e64 v7, 0, 1, s[34:35]
	v_cndmask_b32_e64 v26, 0, v45, s[26:27]
	v_or_b32_e32 v5, v7, v5
	v_add_u32_e32 v46, v26, v24
	v_cmp_gt_u64_e64 s[28:29], s[28:29], v[38:39]
	v_and_b32_e32 v5, 3, v5
	v_cndmask_b32_e64 v26, 0, v46, s[28:29]
	v_or_b32_e32 v3, v5, v3
	v_add_u32_e32 v47, v26, v38
	v_and_b32_e32 v26, 1, v39
	v_and_b32_e32 v3, 15, v3
	v_cmp_eq_u32_e64 s[30:31], 1, v26
	v_cmp_ne_u16_e64 s[34:35], 0, v3
	s_or_b64 s[30:31], s[30:31], s[34:35]
	v_cndmask_b32_e64 v5, v57, 1, s[30:31]
	v_mbcnt_hi_u32_b32 v3, -1, v49
	v_mov_b32_dpp v9, v47 row_shr:1 row_mask:0xf bank_mask:0xf
	v_mov_b32_dpp v11, v5 row_shr:1 row_mask:0xf bank_mask:0xf
	v_cmp_eq_u32_e64 s[30:31], 0, v5
	v_and_b32_e32 v13, 1, v5
	v_and_b32_e32 v7, 15, v3
	v_cndmask_b32_e64 v9, 0, v9, s[30:31]
	v_and_b32_e32 v11, 1, v11
	v_cmp_eq_u32_e64 s[30:31], 1, v13
	v_cndmask_b32_e64 v11, v11, 1, s[30:31]
	v_cmp_eq_u32_e64 s[30:31], 0, v7
	v_cndmask_b32_e64 v5, v11, v5, s[30:31]
	v_and_b32_e32 v15, 1, v5
	v_cmp_eq_u32_e64 s[34:35], 1, v15
	v_mov_b32_dpp v13, v5 row_shr:2 row_mask:0xf bank_mask:0xf
	v_and_b32_e32 v13, 1, v13
	v_cndmask_b32_e64 v13, v13, 1, s[34:35]
	v_cmp_lt_u32_e64 s[34:35], 1, v7
	v_cndmask_b32_e64 v9, v9, 0, s[30:31]
	v_cmp_eq_u32_e64 s[30:31], 0, v5
	v_cndmask_b32_e64 v5, v5, v13, s[34:35]
	v_add_u32_e32 v9, v47, v9
	v_and_b32_e32 v15, 1, v5
	v_mov_b32_dpp v13, v5 row_shr:4 row_mask:0xf bank_mask:0xf
	v_mov_b32_dpp v11, v9 row_shr:2 row_mask:0xf bank_mask:0xf
	s_and_b64 s[30:31], s[34:35], s[30:31]
	v_and_b32_e32 v13, 1, v13
	v_cmp_eq_u32_e64 s[34:35], 1, v15
	v_cndmask_b32_e64 v11, 0, v11, s[30:31]
	v_cndmask_b32_e64 v13, v13, 1, s[34:35]
	v_cmp_lt_u32_e64 s[34:35], 3, v7
	v_add_u32_e32 v9, v9, v11
	v_cmp_eq_u32_e64 s[30:31], 0, v5
	v_cndmask_b32_e64 v5, v5, v13, s[34:35]
	v_mov_b32_dpp v11, v9 row_shr:4 row_mask:0xf bank_mask:0xf
	s_and_b64 s[30:31], s[34:35], s[30:31]
	v_mov_b32_dpp v13, v5 row_shr:8 row_mask:0xf bank_mask:0xf
	v_and_b32_e32 v15, 1, v5
	v_cndmask_b32_e64 v11, 0, v11, s[30:31]
	v_and_b32_e32 v13, 1, v13
	v_cmp_eq_u32_e64 s[34:35], 1, v15
	v_add_u32_e32 v9, v9, v11
	v_cmp_eq_u32_e64 s[30:31], 0, v5
	v_cndmask_b32_e64 v13, v13, 1, s[34:35]
	v_cmp_lt_u32_e64 s[34:35], 7, v7
	v_mov_b32_dpp v11, v9 row_shr:8 row_mask:0xf bank_mask:0xf
	s_and_b64 s[30:31], s[34:35], s[30:31]
	v_cndmask_b32_e64 v7, 0, v11, s[30:31]
	v_cndmask_b32_e64 v5, v5, v13, s[34:35]
	v_add_u32_e32 v7, v9, v7
	v_cmp_eq_u32_e64 s[30:31], 0, v5
	v_mov_b32_dpp v11, v5 row_bcast:15 row_mask:0xf bank_mask:0xf
	v_mov_b32_dpp v9, v7 row_bcast:15 row_mask:0xf bank_mask:0xf
	v_and_b32_e32 v17, 1, v5
	v_and_b32_e32 v15, 16, v3
	v_cndmask_b32_e64 v9, 0, v9, s[30:31]
	v_and_b32_e32 v11, 1, v11
	v_cmp_eq_u32_e64 s[30:31], 1, v17
	v_bfe_i32 v13, v3, 4, 1
	v_cndmask_b32_e64 v11, v11, 1, s[30:31]
	v_cmp_eq_u32_e64 s[30:31], 0, v15
	v_and_b32_e32 v9, v13, v9
	v_cndmask_b32_e64 v5, v11, v5, s[30:31]
	v_add_u32_e32 v9, v7, v9
	v_and_b32_e32 v13, 1, v5
	v_mov_b32_dpp v7, v5 row_bcast:31 row_mask:0xf bank_mask:0xf
	v_and_b32_e32 v7, 1, v7
	v_cmp_eq_u32_e64 s[34:35], 1, v13
	v_cmp_eq_u32_e64 s[30:31], 0, v5
	v_cndmask_b32_e64 v7, v7, 1, s[34:35]
	v_cmp_lt_u32_e64 s[34:35], 31, v3
	v_mov_b32_dpp v11, v9 row_bcast:31 row_mask:0xf bank_mask:0xf
	s_and_b64 s[30:31], s[34:35], s[30:31]
	v_cndmask_b32_e64 v7, v5, v7, s[34:35]
	v_cndmask_b32_e64 v5, 0, v11, s[30:31]
	v_add_u32_e32 v5, v9, v5
	v_cmp_eq_u32_e64 s[30:31], v48, v0
	s_and_saveexec_b64 s[34:35], s[30:31]
	s_cbranch_execz .LBB6_261
; %bb.260:
	v_lshlrev_b32_e32 v9, 3, v1
	ds_write_b32 v9, v5
	ds_write_b8 v9, v7 offset:4
.LBB6_261:
	s_or_b64 exec, exec, s[34:35]
	v_cmp_gt_u32_e64 s[30:31], 4, v0
	s_waitcnt lgkmcnt(0)
	s_barrier
	s_and_saveexec_b64 s[34:35], s[30:31]
	s_cbranch_execz .LBB6_265
; %bb.262:
	v_lshlrev_b32_e32 v9, 3, v0
	ds_read_b64 v[28:29], v9
	v_and_b32_e32 v11, 3, v3
	v_cmp_ne_u32_e64 s[30:31], 0, v11
	s_waitcnt lgkmcnt(0)
	v_mov_b32_dpp v13, v28 row_shr:1 row_mask:0xf bank_mask:0xf
	v_mov_b32_dpp v17, v29 row_shr:1 row_mask:0xf bank_mask:0xf
	v_mov_b32_e32 v15, v29
	s_and_saveexec_b64 s[38:39], s[30:31]
	s_cbranch_execz .LBB6_264
; %bb.263:
	v_and_b32_e32 v15, 1, v29
	v_and_b32_e32 v17, 1, v17
	v_cmp_eq_u32_e64 s[30:31], 1, v15
	v_mov_b32_e32 v15, 0
	v_cndmask_b32_e64 v17, v17, 1, s[30:31]
	v_cmp_eq_u16_sdwa s[30:31], v29, v15 src0_sel:BYTE_0 src1_sel:DWORD
	v_cndmask_b32_e64 v13, 0, v13, s[30:31]
	v_add_u32_e32 v28, v13, v28
	v_and_b32_e32 v13, 0xffff, v17
	s_movk_i32 s30, 0xff00
	v_and_or_b32 v15, v29, s30, v13
	v_mov_b32_e32 v29, v17
.LBB6_264:
	s_or_b64 exec, exec, s[38:39]
	v_mov_b32_dpp v15, v15 row_shr:2 row_mask:0xf bank_mask:0xf
	v_and_b32_e32 v17, 1, v29
	v_and_b32_e32 v15, 1, v15
	v_cmp_eq_u32_e64 s[30:31], 1, v17
	v_mov_b32_e32 v17, 0
	v_cndmask_b32_e64 v15, v15, 1, s[30:31]
	v_cmp_eq_u16_sdwa s[38:39], v29, v17 src0_sel:BYTE_0 src1_sel:DWORD
	v_cmp_lt_u32_e64 s[30:31], 1, v11
	v_mov_b32_dpp v13, v28 row_shr:2 row_mask:0xf bank_mask:0xf
	v_cndmask_b32_e64 v11, v29, v15, s[30:31]
	s_and_b64 s[30:31], s[30:31], s[38:39]
	v_cndmask_b32_e64 v13, 0, v13, s[30:31]
	v_add_u32_e32 v13, v13, v28
	ds_write_b32 v9, v13
	ds_write_b8 v9, v11 offset:4
.LBB6_265:
	s_or_b64 exec, exec, s[34:35]
	v_cmp_lt_u32_e64 s[30:31], 63, v0
	v_mov_b32_e32 v9, 0
	s_waitcnt lgkmcnt(0)
	s_barrier
	s_and_saveexec_b64 s[34:35], s[30:31]
	s_cbranch_execz .LBB6_267
; %bb.266:
	v_lshl_add_u32 v1, v1, 3, -8
	ds_read_b32 v9, v1
	v_cmp_eq_u32_e64 s[30:31], 0, v7
	s_waitcnt lgkmcnt(0)
	v_cndmask_b32_e64 v1, 0, v9, s[30:31]
	v_add_u32_e32 v5, v1, v5
.LBB6_267:
	s_or_b64 exec, exec, s[34:35]
	v_add_u32_e32 v1, -1, v3
	v_and_b32_e32 v7, 64, v3
	v_cmp_lt_i32_e64 s[30:31], v1, v7
	v_cndmask_b32_e64 v1, v1, v3, s[30:31]
	v_lshlrev_b32_e32 v1, 2, v1
	ds_bpermute_b32 v1, v1, v5
	s_and_saveexec_b64 s[30:31], s[2:3]
	s_cbranch_execz .LBB6_269
; %bb.268:
	v_and_b32_e32 v27, 0xff, v57
	v_mov_b32_e32 v26, 0
	v_cmp_eq_u32_e64 s[2:3], 0, v3
	s_waitcnt lgkmcnt(0)
	v_cndmask_b32_e64 v1, v1, v9, s[2:3]
	v_cmp_eq_u64_e64 s[2:3], 0, v[26:27]
	v_cndmask_b32_e64 v1, 0, v1, s[2:3]
	v_add_u32_e32 v56, v1, v56
	v_cndmask_b32_e64 v1, 0, v56, s[4:5]
	v_add_u32_e32 v27, v1, v2
	;; [unrolled: 2-line block ×14, first 2 shown]
	;;#ASMSTART
	;;#ASMEND
.LBB6_269:
	s_or_b64 exec, exec, s[30:31]
	s_and_saveexec_b64 s[2:3], vcc
	s_cbranch_execz .LBB6_271
; %bb.270:
	v_mov_b32_e32 v5, 0
	ds_read_b32 v2, v5 offset:24
	ds_read_u8 v3, v5 offset:28
	s_add_u32 s4, s52, 0x400
	s_addc_u32 s5, s53, 0
	v_mov_b32_e32 v4, 2
	v_pk_mov_b32 v[6:7], s[4:5], s[4:5] op_sel:[0,1]
	s_waitcnt lgkmcnt(0)
	;;#ASMSTART
	global_store_dwordx4 v[6:7], v[2:5] off	
s_waitcnt vmcnt(0)
	;;#ASMEND
.LBB6_271:
	s_or_b64 exec, exec, s[2:3]
	v_mov_b32_e32 v26, v56
.LBB6_272:
	s_add_u32 s2, s36, s56
	s_addc_u32 s3, s37, s57
	s_add_u32 s4, s2, s40
	s_waitcnt lgkmcnt(0)
	v_mul_u32_u24_e32 v1, 14, v0
	s_addc_u32 s5, s3, s41
	s_and_b64 vcc, exec, s[0:1]
	v_lshlrev_b32_e32 v2, 2, v1
	v_lshlrev_b32_e32 v18, 2, v0
	s_cbranch_vccz .LBB6_300
; %bb.273:
	s_movk_i32 s0, 0xffcc
	v_mad_i32_i24 v3, v0, s0, v2
	s_barrier
	ds_write2_b64 v2, v[26:27], v[40:41] offset1:1
	ds_write2_b64 v2, v[30:31], v[42:43] offset0:2 offset1:3
	ds_write2_b64 v2, v[34:35], v[44:45] offset0:4 offset1:5
	ds_write_b64 v2, v[46:47] offset:48
	s_waitcnt lgkmcnt(0)
	s_barrier
	ds_read2st64_b32 v[16:17], v3 offset0:4 offset1:8
	ds_read2st64_b32 v[14:15], v3 offset0:12 offset1:16
	;; [unrolled: 1-line block ×6, first 2 shown]
	ds_read_b32 v3, v3 offset:13312
	v_mov_b32_e32 v7, s5
	v_add_co_u32_e32 v6, vcc, s4, v18
	s_add_i32 s33, s33, s54
	v_addc_co_u32_e32 v7, vcc, 0, v7, vcc
	v_mov_b32_e32 v1, 0
	v_cmp_gt_u32_e32 vcc, s33, v0
	s_and_saveexec_b64 s[0:1], vcc
	s_cbranch_execz .LBB6_275
; %bb.274:
	v_mul_i32_i24_e32 v19, 0xffffffcc, v0
	v_add_u32_e32 v19, v2, v19
	ds_read_b32 v19, v19
	s_waitcnt lgkmcnt(0)
	flat_store_dword v[6:7], v19
.LBB6_275:
	s_or_b64 exec, exec, s[0:1]
	v_or_b32_e32 v19, 0x100, v0
	v_cmp_gt_u32_e32 vcc, s33, v19
	s_and_saveexec_b64 s[0:1], vcc
	s_cbranch_execz .LBB6_277
; %bb.276:
	s_waitcnt lgkmcnt(0)
	flat_store_dword v[6:7], v16 offset:1024
.LBB6_277:
	s_or_b64 exec, exec, s[0:1]
	s_waitcnt lgkmcnt(0)
	v_or_b32_e32 v16, 0x200, v0
	v_cmp_gt_u32_e32 vcc, s33, v16
	s_and_saveexec_b64 s[0:1], vcc
	s_cbranch_execz .LBB6_279
; %bb.278:
	flat_store_dword v[6:7], v17 offset:2048
.LBB6_279:
	s_or_b64 exec, exec, s[0:1]
	v_or_b32_e32 v16, 0x300, v0
	v_cmp_gt_u32_e32 vcc, s33, v16
	s_and_saveexec_b64 s[0:1], vcc
	s_cbranch_execz .LBB6_281
; %bb.280:
	flat_store_dword v[6:7], v14 offset:3072
.LBB6_281:
	s_or_b64 exec, exec, s[0:1]
	v_or_b32_e32 v14, 0x400, v0
	v_cmp_gt_u32_e32 vcc, s33, v14
	s_and_saveexec_b64 s[0:1], vcc
	s_cbranch_execz .LBB6_283
; %bb.282:
	v_add_co_u32_e32 v16, vcc, 0x1000, v6
	v_addc_co_u32_e32 v17, vcc, 0, v7, vcc
	flat_store_dword v[16:17], v15
.LBB6_283:
	s_or_b64 exec, exec, s[0:1]
	v_or_b32_e32 v14, 0x500, v0
	v_cmp_gt_u32_e32 vcc, s33, v14
	s_and_saveexec_b64 s[0:1], vcc
	s_cbranch_execz .LBB6_285
; %bb.284:
	v_add_co_u32_e32 v14, vcc, 0x1000, v6
	v_addc_co_u32_e32 v15, vcc, 0, v7, vcc
	flat_store_dword v[14:15], v12 offset:1024
.LBB6_285:
	s_or_b64 exec, exec, s[0:1]
	v_or_b32_e32 v12, 0x600, v0
	v_cmp_gt_u32_e32 vcc, s33, v12
	s_and_saveexec_b64 s[0:1], vcc
	s_cbranch_execz .LBB6_287
; %bb.286:
	v_add_co_u32_e32 v14, vcc, 0x1000, v6
	v_addc_co_u32_e32 v15, vcc, 0, v7, vcc
	flat_store_dword v[14:15], v13 offset:2048
.LBB6_287:
	;; [unrolled: 10-line block ×3, first 2 shown]
	s_or_b64 exec, exec, s[0:1]
	v_or_b32_e32 v10, 0x800, v0
	v_cmp_gt_u32_e32 vcc, s33, v10
	s_and_saveexec_b64 s[0:1], vcc
	s_cbranch_execz .LBB6_291
; %bb.290:
	v_add_co_u32_e32 v12, vcc, 0x2000, v6
	v_addc_co_u32_e32 v13, vcc, 0, v7, vcc
	flat_store_dword v[12:13], v11
.LBB6_291:
	s_or_b64 exec, exec, s[0:1]
	v_or_b32_e32 v10, 0x900, v0
	v_cmp_gt_u32_e32 vcc, s33, v10
	s_and_saveexec_b64 s[0:1], vcc
	s_cbranch_execz .LBB6_293
; %bb.292:
	v_add_co_u32_e32 v10, vcc, 0x2000, v6
	v_addc_co_u32_e32 v11, vcc, 0, v7, vcc
	flat_store_dword v[10:11], v8 offset:1024
.LBB6_293:
	s_or_b64 exec, exec, s[0:1]
	v_or_b32_e32 v8, 0xa00, v0
	v_cmp_gt_u32_e32 vcc, s33, v8
	s_and_saveexec_b64 s[0:1], vcc
	s_cbranch_execz .LBB6_295
; %bb.294:
	v_add_co_u32_e32 v10, vcc, 0x2000, v6
	v_addc_co_u32_e32 v11, vcc, 0, v7, vcc
	flat_store_dword v[10:11], v9 offset:2048
.LBB6_295:
	;; [unrolled: 10-line block ×3, first 2 shown]
	s_or_b64 exec, exec, s[0:1]
	v_or_b32_e32 v4, 0xc00, v0
	v_cmp_gt_u32_e32 vcc, s33, v4
	s_and_saveexec_b64 s[0:1], vcc
	s_cbranch_execz .LBB6_299
; %bb.298:
	v_add_co_u32_e32 v6, vcc, 0x3000, v6
	v_addc_co_u32_e32 v7, vcc, 0, v7, vcc
	flat_store_dword v[6:7], v5
.LBB6_299:
	s_or_b64 exec, exec, s[0:1]
	v_or_b32_e32 v4, 0xd00, v0
	v_cmp_gt_u32_e64 s[0:1], s33, v4
	s_branch .LBB6_302
.LBB6_300:
	s_mov_b64 s[0:1], 0
                                        ; implicit-def: $vgpr3
	s_cbranch_execz .LBB6_302
; %bb.301:
	s_movk_i32 s2, 0xffcc
	s_waitcnt lgkmcnt(0)
	s_barrier
	ds_write2_b64 v2, v[26:27], v[40:41] offset1:1
	ds_write2_b64 v2, v[30:31], v[42:43] offset0:2 offset1:3
	ds_write2_b64 v2, v[34:35], v[44:45] offset0:4 offset1:5
	ds_write_b64 v2, v[46:47] offset:48
	v_mad_i32_i24 v2, v0, s2, v2
	v_mov_b32_e32 v17, s5
	v_add_co_u32_e32 v16, vcc, s4, v18
	s_waitcnt lgkmcnt(0)
	s_barrier
	ds_read2st64_b32 v[4:5], v2 offset1:4
	ds_read2st64_b32 v[6:7], v2 offset0:8 offset1:12
	ds_read2st64_b32 v[8:9], v2 offset0:16 offset1:20
	;; [unrolled: 1-line block ×6, first 2 shown]
	v_addc_co_u32_e32 v17, vcc, 0, v17, vcc
	s_movk_i32 s2, 0x1000
	s_waitcnt lgkmcnt(0)
	flat_store_dword v[16:17], v4
	flat_store_dword v[16:17], v5 offset:1024
	flat_store_dword v[16:17], v6 offset:2048
	;; [unrolled: 1-line block ×3, first 2 shown]
	v_add_co_u32_e32 v4, vcc, s2, v16
	v_addc_co_u32_e32 v5, vcc, 0, v17, vcc
	flat_store_dword v[4:5], v8
	flat_store_dword v[4:5], v9 offset:1024
	flat_store_dword v[4:5], v10 offset:2048
	;; [unrolled: 1-line block ×3, first 2 shown]
	v_add_co_u32_e32 v4, vcc, 0x2000, v16
	v_addc_co_u32_e32 v5, vcc, 0, v17, vcc
	flat_store_dword v[4:5], v12
	flat_store_dword v[4:5], v13 offset:1024
	flat_store_dword v[4:5], v14 offset:2048
	;; [unrolled: 1-line block ×3, first 2 shown]
	v_add_co_u32_e32 v4, vcc, 0x3000, v16
	v_mov_b32_e32 v1, 0
	v_addc_co_u32_e32 v5, vcc, 0, v17, vcc
	s_or_b64 s[0:1], s[0:1], exec
	flat_store_dword v[4:5], v2
.LBB6_302:
	s_and_saveexec_b64 s[2:3], s[0:1]
	s_cbranch_execnz .LBB6_304
; %bb.303:
	s_endpgm
.LBB6_304:
	v_lshlrev_b64 v[0:1], 2, v[0:1]
	v_mov_b32_e32 v2, s5
	v_add_co_u32_e32 v0, vcc, s4, v0
	v_addc_co_u32_e32 v1, vcc, v2, v1, vcc
	v_add_co_u32_e32 v0, vcc, 0x3000, v0
	v_addc_co_u32_e32 v1, vcc, 0, v1, vcc
	flat_store_dword v[0:1], v3 offset:1024
	s_endpgm
.LBB6_305:
                                        ; implicit-def: $vgpr6_vgpr7
	s_branch .LBB6_221
.LBB6_306:
                                        ; implicit-def: $vgpr54_vgpr55
	s_andn2_b64 vcc, exec, s[62:63]
	s_cbranch_vccz .LBB6_96
	s_branch .LBB6_97
.LBB6_307:
                                        ; implicit-def: $vgpr6_vgpr7
	s_andn2_b64 vcc, exec, s[10:11]
	s_cbranch_vccz .LBB6_217
	s_branch .LBB6_218
	.section	.rodata,"a",@progbits
	.p2align	6, 0x0
	.amdhsa_kernel _ZN7rocprim17ROCPRIM_400000_NS6detail17trampoline_kernelINS0_14default_configENS1_27scan_by_key_config_selectorImiEEZZNS1_16scan_by_key_implILNS1_25lookback_scan_determinismE0ELb0ES3_N6thrust23THRUST_200600_302600_NS18transform_iteratorI9row_indexNS9_17counting_iteratorImNS9_11use_defaultESD_SD_EESD_SD_EENS9_6detail15normal_iteratorINS9_10device_ptrIiEEEESK_iNS9_4plusIvEENS9_8equal_toIvEEiEE10hipError_tPvRmT2_T3_T4_T5_mT6_T7_P12ihipStream_tbENKUlT_T0_E_clISt17integral_constantIbLb0EES15_EEDaS10_S11_EUlS10_E_NS1_11comp_targetILNS1_3genE4ELNS1_11target_archE910ELNS1_3gpuE8ELNS1_3repE0EEENS1_30default_config_static_selectorELNS0_4arch9wavefront6targetE1EEEvT1_
		.amdhsa_group_segment_fixed_size 32768
		.amdhsa_private_segment_fixed_size 0
		.amdhsa_kernarg_size 120
		.amdhsa_user_sgpr_count 6
		.amdhsa_user_sgpr_private_segment_buffer 1
		.amdhsa_user_sgpr_dispatch_ptr 0
		.amdhsa_user_sgpr_queue_ptr 0
		.amdhsa_user_sgpr_kernarg_segment_ptr 1
		.amdhsa_user_sgpr_dispatch_id 0
		.amdhsa_user_sgpr_flat_scratch_init 0
		.amdhsa_user_sgpr_kernarg_preload_length 0
		.amdhsa_user_sgpr_kernarg_preload_offset 0
		.amdhsa_user_sgpr_private_segment_size 0
		.amdhsa_uses_dynamic_stack 0
		.amdhsa_system_sgpr_private_segment_wavefront_offset 0
		.amdhsa_system_sgpr_workgroup_id_x 1
		.amdhsa_system_sgpr_workgroup_id_y 0
		.amdhsa_system_sgpr_workgroup_id_z 0
		.amdhsa_system_sgpr_workgroup_info 0
		.amdhsa_system_vgpr_workitem_id 0
		.amdhsa_next_free_vgpr 65
		.amdhsa_next_free_sgpr 72
		.amdhsa_accum_offset 68
		.amdhsa_reserve_vcc 1
		.amdhsa_reserve_flat_scratch 0
		.amdhsa_float_round_mode_32 0
		.amdhsa_float_round_mode_16_64 0
		.amdhsa_float_denorm_mode_32 3
		.amdhsa_float_denorm_mode_16_64 3
		.amdhsa_dx10_clamp 1
		.amdhsa_ieee_mode 1
		.amdhsa_fp16_overflow 0
		.amdhsa_tg_split 0
		.amdhsa_exception_fp_ieee_invalid_op 0
		.amdhsa_exception_fp_denorm_src 0
		.amdhsa_exception_fp_ieee_div_zero 0
		.amdhsa_exception_fp_ieee_overflow 0
		.amdhsa_exception_fp_ieee_underflow 0
		.amdhsa_exception_fp_ieee_inexact 0
		.amdhsa_exception_int_div_zero 0
	.end_amdhsa_kernel
	.section	.text._ZN7rocprim17ROCPRIM_400000_NS6detail17trampoline_kernelINS0_14default_configENS1_27scan_by_key_config_selectorImiEEZZNS1_16scan_by_key_implILNS1_25lookback_scan_determinismE0ELb0ES3_N6thrust23THRUST_200600_302600_NS18transform_iteratorI9row_indexNS9_17counting_iteratorImNS9_11use_defaultESD_SD_EESD_SD_EENS9_6detail15normal_iteratorINS9_10device_ptrIiEEEESK_iNS9_4plusIvEENS9_8equal_toIvEEiEE10hipError_tPvRmT2_T3_T4_T5_mT6_T7_P12ihipStream_tbENKUlT_T0_E_clISt17integral_constantIbLb0EES15_EEDaS10_S11_EUlS10_E_NS1_11comp_targetILNS1_3genE4ELNS1_11target_archE910ELNS1_3gpuE8ELNS1_3repE0EEENS1_30default_config_static_selectorELNS0_4arch9wavefront6targetE1EEEvT1_,"axG",@progbits,_ZN7rocprim17ROCPRIM_400000_NS6detail17trampoline_kernelINS0_14default_configENS1_27scan_by_key_config_selectorImiEEZZNS1_16scan_by_key_implILNS1_25lookback_scan_determinismE0ELb0ES3_N6thrust23THRUST_200600_302600_NS18transform_iteratorI9row_indexNS9_17counting_iteratorImNS9_11use_defaultESD_SD_EESD_SD_EENS9_6detail15normal_iteratorINS9_10device_ptrIiEEEESK_iNS9_4plusIvEENS9_8equal_toIvEEiEE10hipError_tPvRmT2_T3_T4_T5_mT6_T7_P12ihipStream_tbENKUlT_T0_E_clISt17integral_constantIbLb0EES15_EEDaS10_S11_EUlS10_E_NS1_11comp_targetILNS1_3genE4ELNS1_11target_archE910ELNS1_3gpuE8ELNS1_3repE0EEENS1_30default_config_static_selectorELNS0_4arch9wavefront6targetE1EEEvT1_,comdat
.Lfunc_end6:
	.size	_ZN7rocprim17ROCPRIM_400000_NS6detail17trampoline_kernelINS0_14default_configENS1_27scan_by_key_config_selectorImiEEZZNS1_16scan_by_key_implILNS1_25lookback_scan_determinismE0ELb0ES3_N6thrust23THRUST_200600_302600_NS18transform_iteratorI9row_indexNS9_17counting_iteratorImNS9_11use_defaultESD_SD_EESD_SD_EENS9_6detail15normal_iteratorINS9_10device_ptrIiEEEESK_iNS9_4plusIvEENS9_8equal_toIvEEiEE10hipError_tPvRmT2_T3_T4_T5_mT6_T7_P12ihipStream_tbENKUlT_T0_E_clISt17integral_constantIbLb0EES15_EEDaS10_S11_EUlS10_E_NS1_11comp_targetILNS1_3genE4ELNS1_11target_archE910ELNS1_3gpuE8ELNS1_3repE0EEENS1_30default_config_static_selectorELNS0_4arch9wavefront6targetE1EEEvT1_, .Lfunc_end6-_ZN7rocprim17ROCPRIM_400000_NS6detail17trampoline_kernelINS0_14default_configENS1_27scan_by_key_config_selectorImiEEZZNS1_16scan_by_key_implILNS1_25lookback_scan_determinismE0ELb0ES3_N6thrust23THRUST_200600_302600_NS18transform_iteratorI9row_indexNS9_17counting_iteratorImNS9_11use_defaultESD_SD_EESD_SD_EENS9_6detail15normal_iteratorINS9_10device_ptrIiEEEESK_iNS9_4plusIvEENS9_8equal_toIvEEiEE10hipError_tPvRmT2_T3_T4_T5_mT6_T7_P12ihipStream_tbENKUlT_T0_E_clISt17integral_constantIbLb0EES15_EEDaS10_S11_EUlS10_E_NS1_11comp_targetILNS1_3genE4ELNS1_11target_archE910ELNS1_3gpuE8ELNS1_3repE0EEENS1_30default_config_static_selectorELNS0_4arch9wavefront6targetE1EEEvT1_
                                        ; -- End function
	.section	.AMDGPU.csdata,"",@progbits
; Kernel info:
; codeLenInByte = 34704
; NumSgprs: 76
; NumVgprs: 65
; NumAgprs: 0
; TotalNumVgprs: 65
; ScratchSize: 0
; MemoryBound: 0
; FloatMode: 240
; IeeeMode: 1
; LDSByteSize: 32768 bytes/workgroup (compile time only)
; SGPRBlocks: 9
; VGPRBlocks: 8
; NumSGPRsForWavesPerEU: 76
; NumVGPRsForWavesPerEU: 65
; AccumOffset: 68
; Occupancy: 2
; WaveLimiterHint : 1
; COMPUTE_PGM_RSRC2:SCRATCH_EN: 0
; COMPUTE_PGM_RSRC2:USER_SGPR: 6
; COMPUTE_PGM_RSRC2:TRAP_HANDLER: 0
; COMPUTE_PGM_RSRC2:TGID_X_EN: 1
; COMPUTE_PGM_RSRC2:TGID_Y_EN: 0
; COMPUTE_PGM_RSRC2:TGID_Z_EN: 0
; COMPUTE_PGM_RSRC2:TIDIG_COMP_CNT: 0
; COMPUTE_PGM_RSRC3_GFX90A:ACCUM_OFFSET: 16
; COMPUTE_PGM_RSRC3_GFX90A:TG_SPLIT: 0
	.section	.text._ZN7rocprim17ROCPRIM_400000_NS6detail17trampoline_kernelINS0_14default_configENS1_27scan_by_key_config_selectorImiEEZZNS1_16scan_by_key_implILNS1_25lookback_scan_determinismE0ELb0ES3_N6thrust23THRUST_200600_302600_NS18transform_iteratorI9row_indexNS9_17counting_iteratorImNS9_11use_defaultESD_SD_EESD_SD_EENS9_6detail15normal_iteratorINS9_10device_ptrIiEEEESK_iNS9_4plusIvEENS9_8equal_toIvEEiEE10hipError_tPvRmT2_T3_T4_T5_mT6_T7_P12ihipStream_tbENKUlT_T0_E_clISt17integral_constantIbLb0EES15_EEDaS10_S11_EUlS10_E_NS1_11comp_targetILNS1_3genE3ELNS1_11target_archE908ELNS1_3gpuE7ELNS1_3repE0EEENS1_30default_config_static_selectorELNS0_4arch9wavefront6targetE1EEEvT1_,"axG",@progbits,_ZN7rocprim17ROCPRIM_400000_NS6detail17trampoline_kernelINS0_14default_configENS1_27scan_by_key_config_selectorImiEEZZNS1_16scan_by_key_implILNS1_25lookback_scan_determinismE0ELb0ES3_N6thrust23THRUST_200600_302600_NS18transform_iteratorI9row_indexNS9_17counting_iteratorImNS9_11use_defaultESD_SD_EESD_SD_EENS9_6detail15normal_iteratorINS9_10device_ptrIiEEEESK_iNS9_4plusIvEENS9_8equal_toIvEEiEE10hipError_tPvRmT2_T3_T4_T5_mT6_T7_P12ihipStream_tbENKUlT_T0_E_clISt17integral_constantIbLb0EES15_EEDaS10_S11_EUlS10_E_NS1_11comp_targetILNS1_3genE3ELNS1_11target_archE908ELNS1_3gpuE7ELNS1_3repE0EEENS1_30default_config_static_selectorELNS0_4arch9wavefront6targetE1EEEvT1_,comdat
	.protected	_ZN7rocprim17ROCPRIM_400000_NS6detail17trampoline_kernelINS0_14default_configENS1_27scan_by_key_config_selectorImiEEZZNS1_16scan_by_key_implILNS1_25lookback_scan_determinismE0ELb0ES3_N6thrust23THRUST_200600_302600_NS18transform_iteratorI9row_indexNS9_17counting_iteratorImNS9_11use_defaultESD_SD_EESD_SD_EENS9_6detail15normal_iteratorINS9_10device_ptrIiEEEESK_iNS9_4plusIvEENS9_8equal_toIvEEiEE10hipError_tPvRmT2_T3_T4_T5_mT6_T7_P12ihipStream_tbENKUlT_T0_E_clISt17integral_constantIbLb0EES15_EEDaS10_S11_EUlS10_E_NS1_11comp_targetILNS1_3genE3ELNS1_11target_archE908ELNS1_3gpuE7ELNS1_3repE0EEENS1_30default_config_static_selectorELNS0_4arch9wavefront6targetE1EEEvT1_ ; -- Begin function _ZN7rocprim17ROCPRIM_400000_NS6detail17trampoline_kernelINS0_14default_configENS1_27scan_by_key_config_selectorImiEEZZNS1_16scan_by_key_implILNS1_25lookback_scan_determinismE0ELb0ES3_N6thrust23THRUST_200600_302600_NS18transform_iteratorI9row_indexNS9_17counting_iteratorImNS9_11use_defaultESD_SD_EESD_SD_EENS9_6detail15normal_iteratorINS9_10device_ptrIiEEEESK_iNS9_4plusIvEENS9_8equal_toIvEEiEE10hipError_tPvRmT2_T3_T4_T5_mT6_T7_P12ihipStream_tbENKUlT_T0_E_clISt17integral_constantIbLb0EES15_EEDaS10_S11_EUlS10_E_NS1_11comp_targetILNS1_3genE3ELNS1_11target_archE908ELNS1_3gpuE7ELNS1_3repE0EEENS1_30default_config_static_selectorELNS0_4arch9wavefront6targetE1EEEvT1_
	.globl	_ZN7rocprim17ROCPRIM_400000_NS6detail17trampoline_kernelINS0_14default_configENS1_27scan_by_key_config_selectorImiEEZZNS1_16scan_by_key_implILNS1_25lookback_scan_determinismE0ELb0ES3_N6thrust23THRUST_200600_302600_NS18transform_iteratorI9row_indexNS9_17counting_iteratorImNS9_11use_defaultESD_SD_EESD_SD_EENS9_6detail15normal_iteratorINS9_10device_ptrIiEEEESK_iNS9_4plusIvEENS9_8equal_toIvEEiEE10hipError_tPvRmT2_T3_T4_T5_mT6_T7_P12ihipStream_tbENKUlT_T0_E_clISt17integral_constantIbLb0EES15_EEDaS10_S11_EUlS10_E_NS1_11comp_targetILNS1_3genE3ELNS1_11target_archE908ELNS1_3gpuE7ELNS1_3repE0EEENS1_30default_config_static_selectorELNS0_4arch9wavefront6targetE1EEEvT1_
	.p2align	8
	.type	_ZN7rocprim17ROCPRIM_400000_NS6detail17trampoline_kernelINS0_14default_configENS1_27scan_by_key_config_selectorImiEEZZNS1_16scan_by_key_implILNS1_25lookback_scan_determinismE0ELb0ES3_N6thrust23THRUST_200600_302600_NS18transform_iteratorI9row_indexNS9_17counting_iteratorImNS9_11use_defaultESD_SD_EESD_SD_EENS9_6detail15normal_iteratorINS9_10device_ptrIiEEEESK_iNS9_4plusIvEENS9_8equal_toIvEEiEE10hipError_tPvRmT2_T3_T4_T5_mT6_T7_P12ihipStream_tbENKUlT_T0_E_clISt17integral_constantIbLb0EES15_EEDaS10_S11_EUlS10_E_NS1_11comp_targetILNS1_3genE3ELNS1_11target_archE908ELNS1_3gpuE7ELNS1_3repE0EEENS1_30default_config_static_selectorELNS0_4arch9wavefront6targetE1EEEvT1_,@function
_ZN7rocprim17ROCPRIM_400000_NS6detail17trampoline_kernelINS0_14default_configENS1_27scan_by_key_config_selectorImiEEZZNS1_16scan_by_key_implILNS1_25lookback_scan_determinismE0ELb0ES3_N6thrust23THRUST_200600_302600_NS18transform_iteratorI9row_indexNS9_17counting_iteratorImNS9_11use_defaultESD_SD_EESD_SD_EENS9_6detail15normal_iteratorINS9_10device_ptrIiEEEESK_iNS9_4plusIvEENS9_8equal_toIvEEiEE10hipError_tPvRmT2_T3_T4_T5_mT6_T7_P12ihipStream_tbENKUlT_T0_E_clISt17integral_constantIbLb0EES15_EEDaS10_S11_EUlS10_E_NS1_11comp_targetILNS1_3genE3ELNS1_11target_archE908ELNS1_3gpuE7ELNS1_3repE0EEENS1_30default_config_static_selectorELNS0_4arch9wavefront6targetE1EEEvT1_: ; @_ZN7rocprim17ROCPRIM_400000_NS6detail17trampoline_kernelINS0_14default_configENS1_27scan_by_key_config_selectorImiEEZZNS1_16scan_by_key_implILNS1_25lookback_scan_determinismE0ELb0ES3_N6thrust23THRUST_200600_302600_NS18transform_iteratorI9row_indexNS9_17counting_iteratorImNS9_11use_defaultESD_SD_EESD_SD_EENS9_6detail15normal_iteratorINS9_10device_ptrIiEEEESK_iNS9_4plusIvEENS9_8equal_toIvEEiEE10hipError_tPvRmT2_T3_T4_T5_mT6_T7_P12ihipStream_tbENKUlT_T0_E_clISt17integral_constantIbLb0EES15_EEDaS10_S11_EUlS10_E_NS1_11comp_targetILNS1_3genE3ELNS1_11target_archE908ELNS1_3gpuE7ELNS1_3repE0EEENS1_30default_config_static_selectorELNS0_4arch9wavefront6targetE1EEEvT1_
; %bb.0:
	.section	.rodata,"a",@progbits
	.p2align	6, 0x0
	.amdhsa_kernel _ZN7rocprim17ROCPRIM_400000_NS6detail17trampoline_kernelINS0_14default_configENS1_27scan_by_key_config_selectorImiEEZZNS1_16scan_by_key_implILNS1_25lookback_scan_determinismE0ELb0ES3_N6thrust23THRUST_200600_302600_NS18transform_iteratorI9row_indexNS9_17counting_iteratorImNS9_11use_defaultESD_SD_EESD_SD_EENS9_6detail15normal_iteratorINS9_10device_ptrIiEEEESK_iNS9_4plusIvEENS9_8equal_toIvEEiEE10hipError_tPvRmT2_T3_T4_T5_mT6_T7_P12ihipStream_tbENKUlT_T0_E_clISt17integral_constantIbLb0EES15_EEDaS10_S11_EUlS10_E_NS1_11comp_targetILNS1_3genE3ELNS1_11target_archE908ELNS1_3gpuE7ELNS1_3repE0EEENS1_30default_config_static_selectorELNS0_4arch9wavefront6targetE1EEEvT1_
		.amdhsa_group_segment_fixed_size 0
		.amdhsa_private_segment_fixed_size 0
		.amdhsa_kernarg_size 120
		.amdhsa_user_sgpr_count 6
		.amdhsa_user_sgpr_private_segment_buffer 1
		.amdhsa_user_sgpr_dispatch_ptr 0
		.amdhsa_user_sgpr_queue_ptr 0
		.amdhsa_user_sgpr_kernarg_segment_ptr 1
		.amdhsa_user_sgpr_dispatch_id 0
		.amdhsa_user_sgpr_flat_scratch_init 0
		.amdhsa_user_sgpr_kernarg_preload_length 0
		.amdhsa_user_sgpr_kernarg_preload_offset 0
		.amdhsa_user_sgpr_private_segment_size 0
		.amdhsa_uses_dynamic_stack 0
		.amdhsa_system_sgpr_private_segment_wavefront_offset 0
		.amdhsa_system_sgpr_workgroup_id_x 1
		.amdhsa_system_sgpr_workgroup_id_y 0
		.amdhsa_system_sgpr_workgroup_id_z 0
		.amdhsa_system_sgpr_workgroup_info 0
		.amdhsa_system_vgpr_workitem_id 0
		.amdhsa_next_free_vgpr 1
		.amdhsa_next_free_sgpr 0
		.amdhsa_accum_offset 4
		.amdhsa_reserve_vcc 0
		.amdhsa_reserve_flat_scratch 0
		.amdhsa_float_round_mode_32 0
		.amdhsa_float_round_mode_16_64 0
		.amdhsa_float_denorm_mode_32 3
		.amdhsa_float_denorm_mode_16_64 3
		.amdhsa_dx10_clamp 1
		.amdhsa_ieee_mode 1
		.amdhsa_fp16_overflow 0
		.amdhsa_tg_split 0
		.amdhsa_exception_fp_ieee_invalid_op 0
		.amdhsa_exception_fp_denorm_src 0
		.amdhsa_exception_fp_ieee_div_zero 0
		.amdhsa_exception_fp_ieee_overflow 0
		.amdhsa_exception_fp_ieee_underflow 0
		.amdhsa_exception_fp_ieee_inexact 0
		.amdhsa_exception_int_div_zero 0
	.end_amdhsa_kernel
	.section	.text._ZN7rocprim17ROCPRIM_400000_NS6detail17trampoline_kernelINS0_14default_configENS1_27scan_by_key_config_selectorImiEEZZNS1_16scan_by_key_implILNS1_25lookback_scan_determinismE0ELb0ES3_N6thrust23THRUST_200600_302600_NS18transform_iteratorI9row_indexNS9_17counting_iteratorImNS9_11use_defaultESD_SD_EESD_SD_EENS9_6detail15normal_iteratorINS9_10device_ptrIiEEEESK_iNS9_4plusIvEENS9_8equal_toIvEEiEE10hipError_tPvRmT2_T3_T4_T5_mT6_T7_P12ihipStream_tbENKUlT_T0_E_clISt17integral_constantIbLb0EES15_EEDaS10_S11_EUlS10_E_NS1_11comp_targetILNS1_3genE3ELNS1_11target_archE908ELNS1_3gpuE7ELNS1_3repE0EEENS1_30default_config_static_selectorELNS0_4arch9wavefront6targetE1EEEvT1_,"axG",@progbits,_ZN7rocprim17ROCPRIM_400000_NS6detail17trampoline_kernelINS0_14default_configENS1_27scan_by_key_config_selectorImiEEZZNS1_16scan_by_key_implILNS1_25lookback_scan_determinismE0ELb0ES3_N6thrust23THRUST_200600_302600_NS18transform_iteratorI9row_indexNS9_17counting_iteratorImNS9_11use_defaultESD_SD_EESD_SD_EENS9_6detail15normal_iteratorINS9_10device_ptrIiEEEESK_iNS9_4plusIvEENS9_8equal_toIvEEiEE10hipError_tPvRmT2_T3_T4_T5_mT6_T7_P12ihipStream_tbENKUlT_T0_E_clISt17integral_constantIbLb0EES15_EEDaS10_S11_EUlS10_E_NS1_11comp_targetILNS1_3genE3ELNS1_11target_archE908ELNS1_3gpuE7ELNS1_3repE0EEENS1_30default_config_static_selectorELNS0_4arch9wavefront6targetE1EEEvT1_,comdat
.Lfunc_end7:
	.size	_ZN7rocprim17ROCPRIM_400000_NS6detail17trampoline_kernelINS0_14default_configENS1_27scan_by_key_config_selectorImiEEZZNS1_16scan_by_key_implILNS1_25lookback_scan_determinismE0ELb0ES3_N6thrust23THRUST_200600_302600_NS18transform_iteratorI9row_indexNS9_17counting_iteratorImNS9_11use_defaultESD_SD_EESD_SD_EENS9_6detail15normal_iteratorINS9_10device_ptrIiEEEESK_iNS9_4plusIvEENS9_8equal_toIvEEiEE10hipError_tPvRmT2_T3_T4_T5_mT6_T7_P12ihipStream_tbENKUlT_T0_E_clISt17integral_constantIbLb0EES15_EEDaS10_S11_EUlS10_E_NS1_11comp_targetILNS1_3genE3ELNS1_11target_archE908ELNS1_3gpuE7ELNS1_3repE0EEENS1_30default_config_static_selectorELNS0_4arch9wavefront6targetE1EEEvT1_, .Lfunc_end7-_ZN7rocprim17ROCPRIM_400000_NS6detail17trampoline_kernelINS0_14default_configENS1_27scan_by_key_config_selectorImiEEZZNS1_16scan_by_key_implILNS1_25lookback_scan_determinismE0ELb0ES3_N6thrust23THRUST_200600_302600_NS18transform_iteratorI9row_indexNS9_17counting_iteratorImNS9_11use_defaultESD_SD_EESD_SD_EENS9_6detail15normal_iteratorINS9_10device_ptrIiEEEESK_iNS9_4plusIvEENS9_8equal_toIvEEiEE10hipError_tPvRmT2_T3_T4_T5_mT6_T7_P12ihipStream_tbENKUlT_T0_E_clISt17integral_constantIbLb0EES15_EEDaS10_S11_EUlS10_E_NS1_11comp_targetILNS1_3genE3ELNS1_11target_archE908ELNS1_3gpuE7ELNS1_3repE0EEENS1_30default_config_static_selectorELNS0_4arch9wavefront6targetE1EEEvT1_
                                        ; -- End function
	.section	.AMDGPU.csdata,"",@progbits
; Kernel info:
; codeLenInByte = 0
; NumSgprs: 4
; NumVgprs: 0
; NumAgprs: 0
; TotalNumVgprs: 0
; ScratchSize: 0
; MemoryBound: 0
; FloatMode: 240
; IeeeMode: 1
; LDSByteSize: 0 bytes/workgroup (compile time only)
; SGPRBlocks: 0
; VGPRBlocks: 0
; NumSGPRsForWavesPerEU: 4
; NumVGPRsForWavesPerEU: 1
; AccumOffset: 4
; Occupancy: 8
; WaveLimiterHint : 0
; COMPUTE_PGM_RSRC2:SCRATCH_EN: 0
; COMPUTE_PGM_RSRC2:USER_SGPR: 6
; COMPUTE_PGM_RSRC2:TRAP_HANDLER: 0
; COMPUTE_PGM_RSRC2:TGID_X_EN: 1
; COMPUTE_PGM_RSRC2:TGID_Y_EN: 0
; COMPUTE_PGM_RSRC2:TGID_Z_EN: 0
; COMPUTE_PGM_RSRC2:TIDIG_COMP_CNT: 0
; COMPUTE_PGM_RSRC3_GFX90A:ACCUM_OFFSET: 0
; COMPUTE_PGM_RSRC3_GFX90A:TG_SPLIT: 0
	.section	.text._ZN7rocprim17ROCPRIM_400000_NS6detail17trampoline_kernelINS0_14default_configENS1_27scan_by_key_config_selectorImiEEZZNS1_16scan_by_key_implILNS1_25lookback_scan_determinismE0ELb0ES3_N6thrust23THRUST_200600_302600_NS18transform_iteratorI9row_indexNS9_17counting_iteratorImNS9_11use_defaultESD_SD_EESD_SD_EENS9_6detail15normal_iteratorINS9_10device_ptrIiEEEESK_iNS9_4plusIvEENS9_8equal_toIvEEiEE10hipError_tPvRmT2_T3_T4_T5_mT6_T7_P12ihipStream_tbENKUlT_T0_E_clISt17integral_constantIbLb0EES15_EEDaS10_S11_EUlS10_E_NS1_11comp_targetILNS1_3genE2ELNS1_11target_archE906ELNS1_3gpuE6ELNS1_3repE0EEENS1_30default_config_static_selectorELNS0_4arch9wavefront6targetE1EEEvT1_,"axG",@progbits,_ZN7rocprim17ROCPRIM_400000_NS6detail17trampoline_kernelINS0_14default_configENS1_27scan_by_key_config_selectorImiEEZZNS1_16scan_by_key_implILNS1_25lookback_scan_determinismE0ELb0ES3_N6thrust23THRUST_200600_302600_NS18transform_iteratorI9row_indexNS9_17counting_iteratorImNS9_11use_defaultESD_SD_EESD_SD_EENS9_6detail15normal_iteratorINS9_10device_ptrIiEEEESK_iNS9_4plusIvEENS9_8equal_toIvEEiEE10hipError_tPvRmT2_T3_T4_T5_mT6_T7_P12ihipStream_tbENKUlT_T0_E_clISt17integral_constantIbLb0EES15_EEDaS10_S11_EUlS10_E_NS1_11comp_targetILNS1_3genE2ELNS1_11target_archE906ELNS1_3gpuE6ELNS1_3repE0EEENS1_30default_config_static_selectorELNS0_4arch9wavefront6targetE1EEEvT1_,comdat
	.protected	_ZN7rocprim17ROCPRIM_400000_NS6detail17trampoline_kernelINS0_14default_configENS1_27scan_by_key_config_selectorImiEEZZNS1_16scan_by_key_implILNS1_25lookback_scan_determinismE0ELb0ES3_N6thrust23THRUST_200600_302600_NS18transform_iteratorI9row_indexNS9_17counting_iteratorImNS9_11use_defaultESD_SD_EESD_SD_EENS9_6detail15normal_iteratorINS9_10device_ptrIiEEEESK_iNS9_4plusIvEENS9_8equal_toIvEEiEE10hipError_tPvRmT2_T3_T4_T5_mT6_T7_P12ihipStream_tbENKUlT_T0_E_clISt17integral_constantIbLb0EES15_EEDaS10_S11_EUlS10_E_NS1_11comp_targetILNS1_3genE2ELNS1_11target_archE906ELNS1_3gpuE6ELNS1_3repE0EEENS1_30default_config_static_selectorELNS0_4arch9wavefront6targetE1EEEvT1_ ; -- Begin function _ZN7rocprim17ROCPRIM_400000_NS6detail17trampoline_kernelINS0_14default_configENS1_27scan_by_key_config_selectorImiEEZZNS1_16scan_by_key_implILNS1_25lookback_scan_determinismE0ELb0ES3_N6thrust23THRUST_200600_302600_NS18transform_iteratorI9row_indexNS9_17counting_iteratorImNS9_11use_defaultESD_SD_EESD_SD_EENS9_6detail15normal_iteratorINS9_10device_ptrIiEEEESK_iNS9_4plusIvEENS9_8equal_toIvEEiEE10hipError_tPvRmT2_T3_T4_T5_mT6_T7_P12ihipStream_tbENKUlT_T0_E_clISt17integral_constantIbLb0EES15_EEDaS10_S11_EUlS10_E_NS1_11comp_targetILNS1_3genE2ELNS1_11target_archE906ELNS1_3gpuE6ELNS1_3repE0EEENS1_30default_config_static_selectorELNS0_4arch9wavefront6targetE1EEEvT1_
	.globl	_ZN7rocprim17ROCPRIM_400000_NS6detail17trampoline_kernelINS0_14default_configENS1_27scan_by_key_config_selectorImiEEZZNS1_16scan_by_key_implILNS1_25lookback_scan_determinismE0ELb0ES3_N6thrust23THRUST_200600_302600_NS18transform_iteratorI9row_indexNS9_17counting_iteratorImNS9_11use_defaultESD_SD_EESD_SD_EENS9_6detail15normal_iteratorINS9_10device_ptrIiEEEESK_iNS9_4plusIvEENS9_8equal_toIvEEiEE10hipError_tPvRmT2_T3_T4_T5_mT6_T7_P12ihipStream_tbENKUlT_T0_E_clISt17integral_constantIbLb0EES15_EEDaS10_S11_EUlS10_E_NS1_11comp_targetILNS1_3genE2ELNS1_11target_archE906ELNS1_3gpuE6ELNS1_3repE0EEENS1_30default_config_static_selectorELNS0_4arch9wavefront6targetE1EEEvT1_
	.p2align	8
	.type	_ZN7rocprim17ROCPRIM_400000_NS6detail17trampoline_kernelINS0_14default_configENS1_27scan_by_key_config_selectorImiEEZZNS1_16scan_by_key_implILNS1_25lookback_scan_determinismE0ELb0ES3_N6thrust23THRUST_200600_302600_NS18transform_iteratorI9row_indexNS9_17counting_iteratorImNS9_11use_defaultESD_SD_EESD_SD_EENS9_6detail15normal_iteratorINS9_10device_ptrIiEEEESK_iNS9_4plusIvEENS9_8equal_toIvEEiEE10hipError_tPvRmT2_T3_T4_T5_mT6_T7_P12ihipStream_tbENKUlT_T0_E_clISt17integral_constantIbLb0EES15_EEDaS10_S11_EUlS10_E_NS1_11comp_targetILNS1_3genE2ELNS1_11target_archE906ELNS1_3gpuE6ELNS1_3repE0EEENS1_30default_config_static_selectorELNS0_4arch9wavefront6targetE1EEEvT1_,@function
_ZN7rocprim17ROCPRIM_400000_NS6detail17trampoline_kernelINS0_14default_configENS1_27scan_by_key_config_selectorImiEEZZNS1_16scan_by_key_implILNS1_25lookback_scan_determinismE0ELb0ES3_N6thrust23THRUST_200600_302600_NS18transform_iteratorI9row_indexNS9_17counting_iteratorImNS9_11use_defaultESD_SD_EESD_SD_EENS9_6detail15normal_iteratorINS9_10device_ptrIiEEEESK_iNS9_4plusIvEENS9_8equal_toIvEEiEE10hipError_tPvRmT2_T3_T4_T5_mT6_T7_P12ihipStream_tbENKUlT_T0_E_clISt17integral_constantIbLb0EES15_EEDaS10_S11_EUlS10_E_NS1_11comp_targetILNS1_3genE2ELNS1_11target_archE906ELNS1_3gpuE6ELNS1_3repE0EEENS1_30default_config_static_selectorELNS0_4arch9wavefront6targetE1EEEvT1_: ; @_ZN7rocprim17ROCPRIM_400000_NS6detail17trampoline_kernelINS0_14default_configENS1_27scan_by_key_config_selectorImiEEZZNS1_16scan_by_key_implILNS1_25lookback_scan_determinismE0ELb0ES3_N6thrust23THRUST_200600_302600_NS18transform_iteratorI9row_indexNS9_17counting_iteratorImNS9_11use_defaultESD_SD_EESD_SD_EENS9_6detail15normal_iteratorINS9_10device_ptrIiEEEESK_iNS9_4plusIvEENS9_8equal_toIvEEiEE10hipError_tPvRmT2_T3_T4_T5_mT6_T7_P12ihipStream_tbENKUlT_T0_E_clISt17integral_constantIbLb0EES15_EEDaS10_S11_EUlS10_E_NS1_11comp_targetILNS1_3genE2ELNS1_11target_archE906ELNS1_3gpuE6ELNS1_3repE0EEENS1_30default_config_static_selectorELNS0_4arch9wavefront6targetE1EEEvT1_
; %bb.0:
	.section	.rodata,"a",@progbits
	.p2align	6, 0x0
	.amdhsa_kernel _ZN7rocprim17ROCPRIM_400000_NS6detail17trampoline_kernelINS0_14default_configENS1_27scan_by_key_config_selectorImiEEZZNS1_16scan_by_key_implILNS1_25lookback_scan_determinismE0ELb0ES3_N6thrust23THRUST_200600_302600_NS18transform_iteratorI9row_indexNS9_17counting_iteratorImNS9_11use_defaultESD_SD_EESD_SD_EENS9_6detail15normal_iteratorINS9_10device_ptrIiEEEESK_iNS9_4plusIvEENS9_8equal_toIvEEiEE10hipError_tPvRmT2_T3_T4_T5_mT6_T7_P12ihipStream_tbENKUlT_T0_E_clISt17integral_constantIbLb0EES15_EEDaS10_S11_EUlS10_E_NS1_11comp_targetILNS1_3genE2ELNS1_11target_archE906ELNS1_3gpuE6ELNS1_3repE0EEENS1_30default_config_static_selectorELNS0_4arch9wavefront6targetE1EEEvT1_
		.amdhsa_group_segment_fixed_size 0
		.amdhsa_private_segment_fixed_size 0
		.amdhsa_kernarg_size 120
		.amdhsa_user_sgpr_count 6
		.amdhsa_user_sgpr_private_segment_buffer 1
		.amdhsa_user_sgpr_dispatch_ptr 0
		.amdhsa_user_sgpr_queue_ptr 0
		.amdhsa_user_sgpr_kernarg_segment_ptr 1
		.amdhsa_user_sgpr_dispatch_id 0
		.amdhsa_user_sgpr_flat_scratch_init 0
		.amdhsa_user_sgpr_kernarg_preload_length 0
		.amdhsa_user_sgpr_kernarg_preload_offset 0
		.amdhsa_user_sgpr_private_segment_size 0
		.amdhsa_uses_dynamic_stack 0
		.amdhsa_system_sgpr_private_segment_wavefront_offset 0
		.amdhsa_system_sgpr_workgroup_id_x 1
		.amdhsa_system_sgpr_workgroup_id_y 0
		.amdhsa_system_sgpr_workgroup_id_z 0
		.amdhsa_system_sgpr_workgroup_info 0
		.amdhsa_system_vgpr_workitem_id 0
		.amdhsa_next_free_vgpr 1
		.amdhsa_next_free_sgpr 0
		.amdhsa_accum_offset 4
		.amdhsa_reserve_vcc 0
		.amdhsa_reserve_flat_scratch 0
		.amdhsa_float_round_mode_32 0
		.amdhsa_float_round_mode_16_64 0
		.amdhsa_float_denorm_mode_32 3
		.amdhsa_float_denorm_mode_16_64 3
		.amdhsa_dx10_clamp 1
		.amdhsa_ieee_mode 1
		.amdhsa_fp16_overflow 0
		.amdhsa_tg_split 0
		.amdhsa_exception_fp_ieee_invalid_op 0
		.amdhsa_exception_fp_denorm_src 0
		.amdhsa_exception_fp_ieee_div_zero 0
		.amdhsa_exception_fp_ieee_overflow 0
		.amdhsa_exception_fp_ieee_underflow 0
		.amdhsa_exception_fp_ieee_inexact 0
		.amdhsa_exception_int_div_zero 0
	.end_amdhsa_kernel
	.section	.text._ZN7rocprim17ROCPRIM_400000_NS6detail17trampoline_kernelINS0_14default_configENS1_27scan_by_key_config_selectorImiEEZZNS1_16scan_by_key_implILNS1_25lookback_scan_determinismE0ELb0ES3_N6thrust23THRUST_200600_302600_NS18transform_iteratorI9row_indexNS9_17counting_iteratorImNS9_11use_defaultESD_SD_EESD_SD_EENS9_6detail15normal_iteratorINS9_10device_ptrIiEEEESK_iNS9_4plusIvEENS9_8equal_toIvEEiEE10hipError_tPvRmT2_T3_T4_T5_mT6_T7_P12ihipStream_tbENKUlT_T0_E_clISt17integral_constantIbLb0EES15_EEDaS10_S11_EUlS10_E_NS1_11comp_targetILNS1_3genE2ELNS1_11target_archE906ELNS1_3gpuE6ELNS1_3repE0EEENS1_30default_config_static_selectorELNS0_4arch9wavefront6targetE1EEEvT1_,"axG",@progbits,_ZN7rocprim17ROCPRIM_400000_NS6detail17trampoline_kernelINS0_14default_configENS1_27scan_by_key_config_selectorImiEEZZNS1_16scan_by_key_implILNS1_25lookback_scan_determinismE0ELb0ES3_N6thrust23THRUST_200600_302600_NS18transform_iteratorI9row_indexNS9_17counting_iteratorImNS9_11use_defaultESD_SD_EESD_SD_EENS9_6detail15normal_iteratorINS9_10device_ptrIiEEEESK_iNS9_4plusIvEENS9_8equal_toIvEEiEE10hipError_tPvRmT2_T3_T4_T5_mT6_T7_P12ihipStream_tbENKUlT_T0_E_clISt17integral_constantIbLb0EES15_EEDaS10_S11_EUlS10_E_NS1_11comp_targetILNS1_3genE2ELNS1_11target_archE906ELNS1_3gpuE6ELNS1_3repE0EEENS1_30default_config_static_selectorELNS0_4arch9wavefront6targetE1EEEvT1_,comdat
.Lfunc_end8:
	.size	_ZN7rocprim17ROCPRIM_400000_NS6detail17trampoline_kernelINS0_14default_configENS1_27scan_by_key_config_selectorImiEEZZNS1_16scan_by_key_implILNS1_25lookback_scan_determinismE0ELb0ES3_N6thrust23THRUST_200600_302600_NS18transform_iteratorI9row_indexNS9_17counting_iteratorImNS9_11use_defaultESD_SD_EESD_SD_EENS9_6detail15normal_iteratorINS9_10device_ptrIiEEEESK_iNS9_4plusIvEENS9_8equal_toIvEEiEE10hipError_tPvRmT2_T3_T4_T5_mT6_T7_P12ihipStream_tbENKUlT_T0_E_clISt17integral_constantIbLb0EES15_EEDaS10_S11_EUlS10_E_NS1_11comp_targetILNS1_3genE2ELNS1_11target_archE906ELNS1_3gpuE6ELNS1_3repE0EEENS1_30default_config_static_selectorELNS0_4arch9wavefront6targetE1EEEvT1_, .Lfunc_end8-_ZN7rocprim17ROCPRIM_400000_NS6detail17trampoline_kernelINS0_14default_configENS1_27scan_by_key_config_selectorImiEEZZNS1_16scan_by_key_implILNS1_25lookback_scan_determinismE0ELb0ES3_N6thrust23THRUST_200600_302600_NS18transform_iteratorI9row_indexNS9_17counting_iteratorImNS9_11use_defaultESD_SD_EESD_SD_EENS9_6detail15normal_iteratorINS9_10device_ptrIiEEEESK_iNS9_4plusIvEENS9_8equal_toIvEEiEE10hipError_tPvRmT2_T3_T4_T5_mT6_T7_P12ihipStream_tbENKUlT_T0_E_clISt17integral_constantIbLb0EES15_EEDaS10_S11_EUlS10_E_NS1_11comp_targetILNS1_3genE2ELNS1_11target_archE906ELNS1_3gpuE6ELNS1_3repE0EEENS1_30default_config_static_selectorELNS0_4arch9wavefront6targetE1EEEvT1_
                                        ; -- End function
	.section	.AMDGPU.csdata,"",@progbits
; Kernel info:
; codeLenInByte = 0
; NumSgprs: 4
; NumVgprs: 0
; NumAgprs: 0
; TotalNumVgprs: 0
; ScratchSize: 0
; MemoryBound: 0
; FloatMode: 240
; IeeeMode: 1
; LDSByteSize: 0 bytes/workgroup (compile time only)
; SGPRBlocks: 0
; VGPRBlocks: 0
; NumSGPRsForWavesPerEU: 4
; NumVGPRsForWavesPerEU: 1
; AccumOffset: 4
; Occupancy: 8
; WaveLimiterHint : 0
; COMPUTE_PGM_RSRC2:SCRATCH_EN: 0
; COMPUTE_PGM_RSRC2:USER_SGPR: 6
; COMPUTE_PGM_RSRC2:TRAP_HANDLER: 0
; COMPUTE_PGM_RSRC2:TGID_X_EN: 1
; COMPUTE_PGM_RSRC2:TGID_Y_EN: 0
; COMPUTE_PGM_RSRC2:TGID_Z_EN: 0
; COMPUTE_PGM_RSRC2:TIDIG_COMP_CNT: 0
; COMPUTE_PGM_RSRC3_GFX90A:ACCUM_OFFSET: 0
; COMPUTE_PGM_RSRC3_GFX90A:TG_SPLIT: 0
	.section	.text._ZN7rocprim17ROCPRIM_400000_NS6detail17trampoline_kernelINS0_14default_configENS1_27scan_by_key_config_selectorImiEEZZNS1_16scan_by_key_implILNS1_25lookback_scan_determinismE0ELb0ES3_N6thrust23THRUST_200600_302600_NS18transform_iteratorI9row_indexNS9_17counting_iteratorImNS9_11use_defaultESD_SD_EESD_SD_EENS9_6detail15normal_iteratorINS9_10device_ptrIiEEEESK_iNS9_4plusIvEENS9_8equal_toIvEEiEE10hipError_tPvRmT2_T3_T4_T5_mT6_T7_P12ihipStream_tbENKUlT_T0_E_clISt17integral_constantIbLb0EES15_EEDaS10_S11_EUlS10_E_NS1_11comp_targetILNS1_3genE10ELNS1_11target_archE1200ELNS1_3gpuE4ELNS1_3repE0EEENS1_30default_config_static_selectorELNS0_4arch9wavefront6targetE1EEEvT1_,"axG",@progbits,_ZN7rocprim17ROCPRIM_400000_NS6detail17trampoline_kernelINS0_14default_configENS1_27scan_by_key_config_selectorImiEEZZNS1_16scan_by_key_implILNS1_25lookback_scan_determinismE0ELb0ES3_N6thrust23THRUST_200600_302600_NS18transform_iteratorI9row_indexNS9_17counting_iteratorImNS9_11use_defaultESD_SD_EESD_SD_EENS9_6detail15normal_iteratorINS9_10device_ptrIiEEEESK_iNS9_4plusIvEENS9_8equal_toIvEEiEE10hipError_tPvRmT2_T3_T4_T5_mT6_T7_P12ihipStream_tbENKUlT_T0_E_clISt17integral_constantIbLb0EES15_EEDaS10_S11_EUlS10_E_NS1_11comp_targetILNS1_3genE10ELNS1_11target_archE1200ELNS1_3gpuE4ELNS1_3repE0EEENS1_30default_config_static_selectorELNS0_4arch9wavefront6targetE1EEEvT1_,comdat
	.protected	_ZN7rocprim17ROCPRIM_400000_NS6detail17trampoline_kernelINS0_14default_configENS1_27scan_by_key_config_selectorImiEEZZNS1_16scan_by_key_implILNS1_25lookback_scan_determinismE0ELb0ES3_N6thrust23THRUST_200600_302600_NS18transform_iteratorI9row_indexNS9_17counting_iteratorImNS9_11use_defaultESD_SD_EESD_SD_EENS9_6detail15normal_iteratorINS9_10device_ptrIiEEEESK_iNS9_4plusIvEENS9_8equal_toIvEEiEE10hipError_tPvRmT2_T3_T4_T5_mT6_T7_P12ihipStream_tbENKUlT_T0_E_clISt17integral_constantIbLb0EES15_EEDaS10_S11_EUlS10_E_NS1_11comp_targetILNS1_3genE10ELNS1_11target_archE1200ELNS1_3gpuE4ELNS1_3repE0EEENS1_30default_config_static_selectorELNS0_4arch9wavefront6targetE1EEEvT1_ ; -- Begin function _ZN7rocprim17ROCPRIM_400000_NS6detail17trampoline_kernelINS0_14default_configENS1_27scan_by_key_config_selectorImiEEZZNS1_16scan_by_key_implILNS1_25lookback_scan_determinismE0ELb0ES3_N6thrust23THRUST_200600_302600_NS18transform_iteratorI9row_indexNS9_17counting_iteratorImNS9_11use_defaultESD_SD_EESD_SD_EENS9_6detail15normal_iteratorINS9_10device_ptrIiEEEESK_iNS9_4plusIvEENS9_8equal_toIvEEiEE10hipError_tPvRmT2_T3_T4_T5_mT6_T7_P12ihipStream_tbENKUlT_T0_E_clISt17integral_constantIbLb0EES15_EEDaS10_S11_EUlS10_E_NS1_11comp_targetILNS1_3genE10ELNS1_11target_archE1200ELNS1_3gpuE4ELNS1_3repE0EEENS1_30default_config_static_selectorELNS0_4arch9wavefront6targetE1EEEvT1_
	.globl	_ZN7rocprim17ROCPRIM_400000_NS6detail17trampoline_kernelINS0_14default_configENS1_27scan_by_key_config_selectorImiEEZZNS1_16scan_by_key_implILNS1_25lookback_scan_determinismE0ELb0ES3_N6thrust23THRUST_200600_302600_NS18transform_iteratorI9row_indexNS9_17counting_iteratorImNS9_11use_defaultESD_SD_EESD_SD_EENS9_6detail15normal_iteratorINS9_10device_ptrIiEEEESK_iNS9_4plusIvEENS9_8equal_toIvEEiEE10hipError_tPvRmT2_T3_T4_T5_mT6_T7_P12ihipStream_tbENKUlT_T0_E_clISt17integral_constantIbLb0EES15_EEDaS10_S11_EUlS10_E_NS1_11comp_targetILNS1_3genE10ELNS1_11target_archE1200ELNS1_3gpuE4ELNS1_3repE0EEENS1_30default_config_static_selectorELNS0_4arch9wavefront6targetE1EEEvT1_
	.p2align	8
	.type	_ZN7rocprim17ROCPRIM_400000_NS6detail17trampoline_kernelINS0_14default_configENS1_27scan_by_key_config_selectorImiEEZZNS1_16scan_by_key_implILNS1_25lookback_scan_determinismE0ELb0ES3_N6thrust23THRUST_200600_302600_NS18transform_iteratorI9row_indexNS9_17counting_iteratorImNS9_11use_defaultESD_SD_EESD_SD_EENS9_6detail15normal_iteratorINS9_10device_ptrIiEEEESK_iNS9_4plusIvEENS9_8equal_toIvEEiEE10hipError_tPvRmT2_T3_T4_T5_mT6_T7_P12ihipStream_tbENKUlT_T0_E_clISt17integral_constantIbLb0EES15_EEDaS10_S11_EUlS10_E_NS1_11comp_targetILNS1_3genE10ELNS1_11target_archE1200ELNS1_3gpuE4ELNS1_3repE0EEENS1_30default_config_static_selectorELNS0_4arch9wavefront6targetE1EEEvT1_,@function
_ZN7rocprim17ROCPRIM_400000_NS6detail17trampoline_kernelINS0_14default_configENS1_27scan_by_key_config_selectorImiEEZZNS1_16scan_by_key_implILNS1_25lookback_scan_determinismE0ELb0ES3_N6thrust23THRUST_200600_302600_NS18transform_iteratorI9row_indexNS9_17counting_iteratorImNS9_11use_defaultESD_SD_EESD_SD_EENS9_6detail15normal_iteratorINS9_10device_ptrIiEEEESK_iNS9_4plusIvEENS9_8equal_toIvEEiEE10hipError_tPvRmT2_T3_T4_T5_mT6_T7_P12ihipStream_tbENKUlT_T0_E_clISt17integral_constantIbLb0EES15_EEDaS10_S11_EUlS10_E_NS1_11comp_targetILNS1_3genE10ELNS1_11target_archE1200ELNS1_3gpuE4ELNS1_3repE0EEENS1_30default_config_static_selectorELNS0_4arch9wavefront6targetE1EEEvT1_: ; @_ZN7rocprim17ROCPRIM_400000_NS6detail17trampoline_kernelINS0_14default_configENS1_27scan_by_key_config_selectorImiEEZZNS1_16scan_by_key_implILNS1_25lookback_scan_determinismE0ELb0ES3_N6thrust23THRUST_200600_302600_NS18transform_iteratorI9row_indexNS9_17counting_iteratorImNS9_11use_defaultESD_SD_EESD_SD_EENS9_6detail15normal_iteratorINS9_10device_ptrIiEEEESK_iNS9_4plusIvEENS9_8equal_toIvEEiEE10hipError_tPvRmT2_T3_T4_T5_mT6_T7_P12ihipStream_tbENKUlT_T0_E_clISt17integral_constantIbLb0EES15_EEDaS10_S11_EUlS10_E_NS1_11comp_targetILNS1_3genE10ELNS1_11target_archE1200ELNS1_3gpuE4ELNS1_3repE0EEENS1_30default_config_static_selectorELNS0_4arch9wavefront6targetE1EEEvT1_
; %bb.0:
	.section	.rodata,"a",@progbits
	.p2align	6, 0x0
	.amdhsa_kernel _ZN7rocprim17ROCPRIM_400000_NS6detail17trampoline_kernelINS0_14default_configENS1_27scan_by_key_config_selectorImiEEZZNS1_16scan_by_key_implILNS1_25lookback_scan_determinismE0ELb0ES3_N6thrust23THRUST_200600_302600_NS18transform_iteratorI9row_indexNS9_17counting_iteratorImNS9_11use_defaultESD_SD_EESD_SD_EENS9_6detail15normal_iteratorINS9_10device_ptrIiEEEESK_iNS9_4plusIvEENS9_8equal_toIvEEiEE10hipError_tPvRmT2_T3_T4_T5_mT6_T7_P12ihipStream_tbENKUlT_T0_E_clISt17integral_constantIbLb0EES15_EEDaS10_S11_EUlS10_E_NS1_11comp_targetILNS1_3genE10ELNS1_11target_archE1200ELNS1_3gpuE4ELNS1_3repE0EEENS1_30default_config_static_selectorELNS0_4arch9wavefront6targetE1EEEvT1_
		.amdhsa_group_segment_fixed_size 0
		.amdhsa_private_segment_fixed_size 0
		.amdhsa_kernarg_size 120
		.amdhsa_user_sgpr_count 6
		.amdhsa_user_sgpr_private_segment_buffer 1
		.amdhsa_user_sgpr_dispatch_ptr 0
		.amdhsa_user_sgpr_queue_ptr 0
		.amdhsa_user_sgpr_kernarg_segment_ptr 1
		.amdhsa_user_sgpr_dispatch_id 0
		.amdhsa_user_sgpr_flat_scratch_init 0
		.amdhsa_user_sgpr_kernarg_preload_length 0
		.amdhsa_user_sgpr_kernarg_preload_offset 0
		.amdhsa_user_sgpr_private_segment_size 0
		.amdhsa_uses_dynamic_stack 0
		.amdhsa_system_sgpr_private_segment_wavefront_offset 0
		.amdhsa_system_sgpr_workgroup_id_x 1
		.amdhsa_system_sgpr_workgroup_id_y 0
		.amdhsa_system_sgpr_workgroup_id_z 0
		.amdhsa_system_sgpr_workgroup_info 0
		.amdhsa_system_vgpr_workitem_id 0
		.amdhsa_next_free_vgpr 1
		.amdhsa_next_free_sgpr 0
		.amdhsa_accum_offset 4
		.amdhsa_reserve_vcc 0
		.amdhsa_reserve_flat_scratch 0
		.amdhsa_float_round_mode_32 0
		.amdhsa_float_round_mode_16_64 0
		.amdhsa_float_denorm_mode_32 3
		.amdhsa_float_denorm_mode_16_64 3
		.amdhsa_dx10_clamp 1
		.amdhsa_ieee_mode 1
		.amdhsa_fp16_overflow 0
		.amdhsa_tg_split 0
		.amdhsa_exception_fp_ieee_invalid_op 0
		.amdhsa_exception_fp_denorm_src 0
		.amdhsa_exception_fp_ieee_div_zero 0
		.amdhsa_exception_fp_ieee_overflow 0
		.amdhsa_exception_fp_ieee_underflow 0
		.amdhsa_exception_fp_ieee_inexact 0
		.amdhsa_exception_int_div_zero 0
	.end_amdhsa_kernel
	.section	.text._ZN7rocprim17ROCPRIM_400000_NS6detail17trampoline_kernelINS0_14default_configENS1_27scan_by_key_config_selectorImiEEZZNS1_16scan_by_key_implILNS1_25lookback_scan_determinismE0ELb0ES3_N6thrust23THRUST_200600_302600_NS18transform_iteratorI9row_indexNS9_17counting_iteratorImNS9_11use_defaultESD_SD_EESD_SD_EENS9_6detail15normal_iteratorINS9_10device_ptrIiEEEESK_iNS9_4plusIvEENS9_8equal_toIvEEiEE10hipError_tPvRmT2_T3_T4_T5_mT6_T7_P12ihipStream_tbENKUlT_T0_E_clISt17integral_constantIbLb0EES15_EEDaS10_S11_EUlS10_E_NS1_11comp_targetILNS1_3genE10ELNS1_11target_archE1200ELNS1_3gpuE4ELNS1_3repE0EEENS1_30default_config_static_selectorELNS0_4arch9wavefront6targetE1EEEvT1_,"axG",@progbits,_ZN7rocprim17ROCPRIM_400000_NS6detail17trampoline_kernelINS0_14default_configENS1_27scan_by_key_config_selectorImiEEZZNS1_16scan_by_key_implILNS1_25lookback_scan_determinismE0ELb0ES3_N6thrust23THRUST_200600_302600_NS18transform_iteratorI9row_indexNS9_17counting_iteratorImNS9_11use_defaultESD_SD_EESD_SD_EENS9_6detail15normal_iteratorINS9_10device_ptrIiEEEESK_iNS9_4plusIvEENS9_8equal_toIvEEiEE10hipError_tPvRmT2_T3_T4_T5_mT6_T7_P12ihipStream_tbENKUlT_T0_E_clISt17integral_constantIbLb0EES15_EEDaS10_S11_EUlS10_E_NS1_11comp_targetILNS1_3genE10ELNS1_11target_archE1200ELNS1_3gpuE4ELNS1_3repE0EEENS1_30default_config_static_selectorELNS0_4arch9wavefront6targetE1EEEvT1_,comdat
.Lfunc_end9:
	.size	_ZN7rocprim17ROCPRIM_400000_NS6detail17trampoline_kernelINS0_14default_configENS1_27scan_by_key_config_selectorImiEEZZNS1_16scan_by_key_implILNS1_25lookback_scan_determinismE0ELb0ES3_N6thrust23THRUST_200600_302600_NS18transform_iteratorI9row_indexNS9_17counting_iteratorImNS9_11use_defaultESD_SD_EESD_SD_EENS9_6detail15normal_iteratorINS9_10device_ptrIiEEEESK_iNS9_4plusIvEENS9_8equal_toIvEEiEE10hipError_tPvRmT2_T3_T4_T5_mT6_T7_P12ihipStream_tbENKUlT_T0_E_clISt17integral_constantIbLb0EES15_EEDaS10_S11_EUlS10_E_NS1_11comp_targetILNS1_3genE10ELNS1_11target_archE1200ELNS1_3gpuE4ELNS1_3repE0EEENS1_30default_config_static_selectorELNS0_4arch9wavefront6targetE1EEEvT1_, .Lfunc_end9-_ZN7rocprim17ROCPRIM_400000_NS6detail17trampoline_kernelINS0_14default_configENS1_27scan_by_key_config_selectorImiEEZZNS1_16scan_by_key_implILNS1_25lookback_scan_determinismE0ELb0ES3_N6thrust23THRUST_200600_302600_NS18transform_iteratorI9row_indexNS9_17counting_iteratorImNS9_11use_defaultESD_SD_EESD_SD_EENS9_6detail15normal_iteratorINS9_10device_ptrIiEEEESK_iNS9_4plusIvEENS9_8equal_toIvEEiEE10hipError_tPvRmT2_T3_T4_T5_mT6_T7_P12ihipStream_tbENKUlT_T0_E_clISt17integral_constantIbLb0EES15_EEDaS10_S11_EUlS10_E_NS1_11comp_targetILNS1_3genE10ELNS1_11target_archE1200ELNS1_3gpuE4ELNS1_3repE0EEENS1_30default_config_static_selectorELNS0_4arch9wavefront6targetE1EEEvT1_
                                        ; -- End function
	.section	.AMDGPU.csdata,"",@progbits
; Kernel info:
; codeLenInByte = 0
; NumSgprs: 4
; NumVgprs: 0
; NumAgprs: 0
; TotalNumVgprs: 0
; ScratchSize: 0
; MemoryBound: 0
; FloatMode: 240
; IeeeMode: 1
; LDSByteSize: 0 bytes/workgroup (compile time only)
; SGPRBlocks: 0
; VGPRBlocks: 0
; NumSGPRsForWavesPerEU: 4
; NumVGPRsForWavesPerEU: 1
; AccumOffset: 4
; Occupancy: 8
; WaveLimiterHint : 0
; COMPUTE_PGM_RSRC2:SCRATCH_EN: 0
; COMPUTE_PGM_RSRC2:USER_SGPR: 6
; COMPUTE_PGM_RSRC2:TRAP_HANDLER: 0
; COMPUTE_PGM_RSRC2:TGID_X_EN: 1
; COMPUTE_PGM_RSRC2:TGID_Y_EN: 0
; COMPUTE_PGM_RSRC2:TGID_Z_EN: 0
; COMPUTE_PGM_RSRC2:TIDIG_COMP_CNT: 0
; COMPUTE_PGM_RSRC3_GFX90A:ACCUM_OFFSET: 0
; COMPUTE_PGM_RSRC3_GFX90A:TG_SPLIT: 0
	.section	.text._ZN7rocprim17ROCPRIM_400000_NS6detail17trampoline_kernelINS0_14default_configENS1_27scan_by_key_config_selectorImiEEZZNS1_16scan_by_key_implILNS1_25lookback_scan_determinismE0ELb0ES3_N6thrust23THRUST_200600_302600_NS18transform_iteratorI9row_indexNS9_17counting_iteratorImNS9_11use_defaultESD_SD_EESD_SD_EENS9_6detail15normal_iteratorINS9_10device_ptrIiEEEESK_iNS9_4plusIvEENS9_8equal_toIvEEiEE10hipError_tPvRmT2_T3_T4_T5_mT6_T7_P12ihipStream_tbENKUlT_T0_E_clISt17integral_constantIbLb0EES15_EEDaS10_S11_EUlS10_E_NS1_11comp_targetILNS1_3genE9ELNS1_11target_archE1100ELNS1_3gpuE3ELNS1_3repE0EEENS1_30default_config_static_selectorELNS0_4arch9wavefront6targetE1EEEvT1_,"axG",@progbits,_ZN7rocprim17ROCPRIM_400000_NS6detail17trampoline_kernelINS0_14default_configENS1_27scan_by_key_config_selectorImiEEZZNS1_16scan_by_key_implILNS1_25lookback_scan_determinismE0ELb0ES3_N6thrust23THRUST_200600_302600_NS18transform_iteratorI9row_indexNS9_17counting_iteratorImNS9_11use_defaultESD_SD_EESD_SD_EENS9_6detail15normal_iteratorINS9_10device_ptrIiEEEESK_iNS9_4plusIvEENS9_8equal_toIvEEiEE10hipError_tPvRmT2_T3_T4_T5_mT6_T7_P12ihipStream_tbENKUlT_T0_E_clISt17integral_constantIbLb0EES15_EEDaS10_S11_EUlS10_E_NS1_11comp_targetILNS1_3genE9ELNS1_11target_archE1100ELNS1_3gpuE3ELNS1_3repE0EEENS1_30default_config_static_selectorELNS0_4arch9wavefront6targetE1EEEvT1_,comdat
	.protected	_ZN7rocprim17ROCPRIM_400000_NS6detail17trampoline_kernelINS0_14default_configENS1_27scan_by_key_config_selectorImiEEZZNS1_16scan_by_key_implILNS1_25lookback_scan_determinismE0ELb0ES3_N6thrust23THRUST_200600_302600_NS18transform_iteratorI9row_indexNS9_17counting_iteratorImNS9_11use_defaultESD_SD_EESD_SD_EENS9_6detail15normal_iteratorINS9_10device_ptrIiEEEESK_iNS9_4plusIvEENS9_8equal_toIvEEiEE10hipError_tPvRmT2_T3_T4_T5_mT6_T7_P12ihipStream_tbENKUlT_T0_E_clISt17integral_constantIbLb0EES15_EEDaS10_S11_EUlS10_E_NS1_11comp_targetILNS1_3genE9ELNS1_11target_archE1100ELNS1_3gpuE3ELNS1_3repE0EEENS1_30default_config_static_selectorELNS0_4arch9wavefront6targetE1EEEvT1_ ; -- Begin function _ZN7rocprim17ROCPRIM_400000_NS6detail17trampoline_kernelINS0_14default_configENS1_27scan_by_key_config_selectorImiEEZZNS1_16scan_by_key_implILNS1_25lookback_scan_determinismE0ELb0ES3_N6thrust23THRUST_200600_302600_NS18transform_iteratorI9row_indexNS9_17counting_iteratorImNS9_11use_defaultESD_SD_EESD_SD_EENS9_6detail15normal_iteratorINS9_10device_ptrIiEEEESK_iNS9_4plusIvEENS9_8equal_toIvEEiEE10hipError_tPvRmT2_T3_T4_T5_mT6_T7_P12ihipStream_tbENKUlT_T0_E_clISt17integral_constantIbLb0EES15_EEDaS10_S11_EUlS10_E_NS1_11comp_targetILNS1_3genE9ELNS1_11target_archE1100ELNS1_3gpuE3ELNS1_3repE0EEENS1_30default_config_static_selectorELNS0_4arch9wavefront6targetE1EEEvT1_
	.globl	_ZN7rocprim17ROCPRIM_400000_NS6detail17trampoline_kernelINS0_14default_configENS1_27scan_by_key_config_selectorImiEEZZNS1_16scan_by_key_implILNS1_25lookback_scan_determinismE0ELb0ES3_N6thrust23THRUST_200600_302600_NS18transform_iteratorI9row_indexNS9_17counting_iteratorImNS9_11use_defaultESD_SD_EESD_SD_EENS9_6detail15normal_iteratorINS9_10device_ptrIiEEEESK_iNS9_4plusIvEENS9_8equal_toIvEEiEE10hipError_tPvRmT2_T3_T4_T5_mT6_T7_P12ihipStream_tbENKUlT_T0_E_clISt17integral_constantIbLb0EES15_EEDaS10_S11_EUlS10_E_NS1_11comp_targetILNS1_3genE9ELNS1_11target_archE1100ELNS1_3gpuE3ELNS1_3repE0EEENS1_30default_config_static_selectorELNS0_4arch9wavefront6targetE1EEEvT1_
	.p2align	8
	.type	_ZN7rocprim17ROCPRIM_400000_NS6detail17trampoline_kernelINS0_14default_configENS1_27scan_by_key_config_selectorImiEEZZNS1_16scan_by_key_implILNS1_25lookback_scan_determinismE0ELb0ES3_N6thrust23THRUST_200600_302600_NS18transform_iteratorI9row_indexNS9_17counting_iteratorImNS9_11use_defaultESD_SD_EESD_SD_EENS9_6detail15normal_iteratorINS9_10device_ptrIiEEEESK_iNS9_4plusIvEENS9_8equal_toIvEEiEE10hipError_tPvRmT2_T3_T4_T5_mT6_T7_P12ihipStream_tbENKUlT_T0_E_clISt17integral_constantIbLb0EES15_EEDaS10_S11_EUlS10_E_NS1_11comp_targetILNS1_3genE9ELNS1_11target_archE1100ELNS1_3gpuE3ELNS1_3repE0EEENS1_30default_config_static_selectorELNS0_4arch9wavefront6targetE1EEEvT1_,@function
_ZN7rocprim17ROCPRIM_400000_NS6detail17trampoline_kernelINS0_14default_configENS1_27scan_by_key_config_selectorImiEEZZNS1_16scan_by_key_implILNS1_25lookback_scan_determinismE0ELb0ES3_N6thrust23THRUST_200600_302600_NS18transform_iteratorI9row_indexNS9_17counting_iteratorImNS9_11use_defaultESD_SD_EESD_SD_EENS9_6detail15normal_iteratorINS9_10device_ptrIiEEEESK_iNS9_4plusIvEENS9_8equal_toIvEEiEE10hipError_tPvRmT2_T3_T4_T5_mT6_T7_P12ihipStream_tbENKUlT_T0_E_clISt17integral_constantIbLb0EES15_EEDaS10_S11_EUlS10_E_NS1_11comp_targetILNS1_3genE9ELNS1_11target_archE1100ELNS1_3gpuE3ELNS1_3repE0EEENS1_30default_config_static_selectorELNS0_4arch9wavefront6targetE1EEEvT1_: ; @_ZN7rocprim17ROCPRIM_400000_NS6detail17trampoline_kernelINS0_14default_configENS1_27scan_by_key_config_selectorImiEEZZNS1_16scan_by_key_implILNS1_25lookback_scan_determinismE0ELb0ES3_N6thrust23THRUST_200600_302600_NS18transform_iteratorI9row_indexNS9_17counting_iteratorImNS9_11use_defaultESD_SD_EESD_SD_EENS9_6detail15normal_iteratorINS9_10device_ptrIiEEEESK_iNS9_4plusIvEENS9_8equal_toIvEEiEE10hipError_tPvRmT2_T3_T4_T5_mT6_T7_P12ihipStream_tbENKUlT_T0_E_clISt17integral_constantIbLb0EES15_EEDaS10_S11_EUlS10_E_NS1_11comp_targetILNS1_3genE9ELNS1_11target_archE1100ELNS1_3gpuE3ELNS1_3repE0EEENS1_30default_config_static_selectorELNS0_4arch9wavefront6targetE1EEEvT1_
; %bb.0:
	.section	.rodata,"a",@progbits
	.p2align	6, 0x0
	.amdhsa_kernel _ZN7rocprim17ROCPRIM_400000_NS6detail17trampoline_kernelINS0_14default_configENS1_27scan_by_key_config_selectorImiEEZZNS1_16scan_by_key_implILNS1_25lookback_scan_determinismE0ELb0ES3_N6thrust23THRUST_200600_302600_NS18transform_iteratorI9row_indexNS9_17counting_iteratorImNS9_11use_defaultESD_SD_EESD_SD_EENS9_6detail15normal_iteratorINS9_10device_ptrIiEEEESK_iNS9_4plusIvEENS9_8equal_toIvEEiEE10hipError_tPvRmT2_T3_T4_T5_mT6_T7_P12ihipStream_tbENKUlT_T0_E_clISt17integral_constantIbLb0EES15_EEDaS10_S11_EUlS10_E_NS1_11comp_targetILNS1_3genE9ELNS1_11target_archE1100ELNS1_3gpuE3ELNS1_3repE0EEENS1_30default_config_static_selectorELNS0_4arch9wavefront6targetE1EEEvT1_
		.amdhsa_group_segment_fixed_size 0
		.amdhsa_private_segment_fixed_size 0
		.amdhsa_kernarg_size 120
		.amdhsa_user_sgpr_count 6
		.amdhsa_user_sgpr_private_segment_buffer 1
		.amdhsa_user_sgpr_dispatch_ptr 0
		.amdhsa_user_sgpr_queue_ptr 0
		.amdhsa_user_sgpr_kernarg_segment_ptr 1
		.amdhsa_user_sgpr_dispatch_id 0
		.amdhsa_user_sgpr_flat_scratch_init 0
		.amdhsa_user_sgpr_kernarg_preload_length 0
		.amdhsa_user_sgpr_kernarg_preload_offset 0
		.amdhsa_user_sgpr_private_segment_size 0
		.amdhsa_uses_dynamic_stack 0
		.amdhsa_system_sgpr_private_segment_wavefront_offset 0
		.amdhsa_system_sgpr_workgroup_id_x 1
		.amdhsa_system_sgpr_workgroup_id_y 0
		.amdhsa_system_sgpr_workgroup_id_z 0
		.amdhsa_system_sgpr_workgroup_info 0
		.amdhsa_system_vgpr_workitem_id 0
		.amdhsa_next_free_vgpr 1
		.amdhsa_next_free_sgpr 0
		.amdhsa_accum_offset 4
		.amdhsa_reserve_vcc 0
		.amdhsa_reserve_flat_scratch 0
		.amdhsa_float_round_mode_32 0
		.amdhsa_float_round_mode_16_64 0
		.amdhsa_float_denorm_mode_32 3
		.amdhsa_float_denorm_mode_16_64 3
		.amdhsa_dx10_clamp 1
		.amdhsa_ieee_mode 1
		.amdhsa_fp16_overflow 0
		.amdhsa_tg_split 0
		.amdhsa_exception_fp_ieee_invalid_op 0
		.amdhsa_exception_fp_denorm_src 0
		.amdhsa_exception_fp_ieee_div_zero 0
		.amdhsa_exception_fp_ieee_overflow 0
		.amdhsa_exception_fp_ieee_underflow 0
		.amdhsa_exception_fp_ieee_inexact 0
		.amdhsa_exception_int_div_zero 0
	.end_amdhsa_kernel
	.section	.text._ZN7rocprim17ROCPRIM_400000_NS6detail17trampoline_kernelINS0_14default_configENS1_27scan_by_key_config_selectorImiEEZZNS1_16scan_by_key_implILNS1_25lookback_scan_determinismE0ELb0ES3_N6thrust23THRUST_200600_302600_NS18transform_iteratorI9row_indexNS9_17counting_iteratorImNS9_11use_defaultESD_SD_EESD_SD_EENS9_6detail15normal_iteratorINS9_10device_ptrIiEEEESK_iNS9_4plusIvEENS9_8equal_toIvEEiEE10hipError_tPvRmT2_T3_T4_T5_mT6_T7_P12ihipStream_tbENKUlT_T0_E_clISt17integral_constantIbLb0EES15_EEDaS10_S11_EUlS10_E_NS1_11comp_targetILNS1_3genE9ELNS1_11target_archE1100ELNS1_3gpuE3ELNS1_3repE0EEENS1_30default_config_static_selectorELNS0_4arch9wavefront6targetE1EEEvT1_,"axG",@progbits,_ZN7rocprim17ROCPRIM_400000_NS6detail17trampoline_kernelINS0_14default_configENS1_27scan_by_key_config_selectorImiEEZZNS1_16scan_by_key_implILNS1_25lookback_scan_determinismE0ELb0ES3_N6thrust23THRUST_200600_302600_NS18transform_iteratorI9row_indexNS9_17counting_iteratorImNS9_11use_defaultESD_SD_EESD_SD_EENS9_6detail15normal_iteratorINS9_10device_ptrIiEEEESK_iNS9_4plusIvEENS9_8equal_toIvEEiEE10hipError_tPvRmT2_T3_T4_T5_mT6_T7_P12ihipStream_tbENKUlT_T0_E_clISt17integral_constantIbLb0EES15_EEDaS10_S11_EUlS10_E_NS1_11comp_targetILNS1_3genE9ELNS1_11target_archE1100ELNS1_3gpuE3ELNS1_3repE0EEENS1_30default_config_static_selectorELNS0_4arch9wavefront6targetE1EEEvT1_,comdat
.Lfunc_end10:
	.size	_ZN7rocprim17ROCPRIM_400000_NS6detail17trampoline_kernelINS0_14default_configENS1_27scan_by_key_config_selectorImiEEZZNS1_16scan_by_key_implILNS1_25lookback_scan_determinismE0ELb0ES3_N6thrust23THRUST_200600_302600_NS18transform_iteratorI9row_indexNS9_17counting_iteratorImNS9_11use_defaultESD_SD_EESD_SD_EENS9_6detail15normal_iteratorINS9_10device_ptrIiEEEESK_iNS9_4plusIvEENS9_8equal_toIvEEiEE10hipError_tPvRmT2_T3_T4_T5_mT6_T7_P12ihipStream_tbENKUlT_T0_E_clISt17integral_constantIbLb0EES15_EEDaS10_S11_EUlS10_E_NS1_11comp_targetILNS1_3genE9ELNS1_11target_archE1100ELNS1_3gpuE3ELNS1_3repE0EEENS1_30default_config_static_selectorELNS0_4arch9wavefront6targetE1EEEvT1_, .Lfunc_end10-_ZN7rocprim17ROCPRIM_400000_NS6detail17trampoline_kernelINS0_14default_configENS1_27scan_by_key_config_selectorImiEEZZNS1_16scan_by_key_implILNS1_25lookback_scan_determinismE0ELb0ES3_N6thrust23THRUST_200600_302600_NS18transform_iteratorI9row_indexNS9_17counting_iteratorImNS9_11use_defaultESD_SD_EESD_SD_EENS9_6detail15normal_iteratorINS9_10device_ptrIiEEEESK_iNS9_4plusIvEENS9_8equal_toIvEEiEE10hipError_tPvRmT2_T3_T4_T5_mT6_T7_P12ihipStream_tbENKUlT_T0_E_clISt17integral_constantIbLb0EES15_EEDaS10_S11_EUlS10_E_NS1_11comp_targetILNS1_3genE9ELNS1_11target_archE1100ELNS1_3gpuE3ELNS1_3repE0EEENS1_30default_config_static_selectorELNS0_4arch9wavefront6targetE1EEEvT1_
                                        ; -- End function
	.section	.AMDGPU.csdata,"",@progbits
; Kernel info:
; codeLenInByte = 0
; NumSgprs: 4
; NumVgprs: 0
; NumAgprs: 0
; TotalNumVgprs: 0
; ScratchSize: 0
; MemoryBound: 0
; FloatMode: 240
; IeeeMode: 1
; LDSByteSize: 0 bytes/workgroup (compile time only)
; SGPRBlocks: 0
; VGPRBlocks: 0
; NumSGPRsForWavesPerEU: 4
; NumVGPRsForWavesPerEU: 1
; AccumOffset: 4
; Occupancy: 8
; WaveLimiterHint : 0
; COMPUTE_PGM_RSRC2:SCRATCH_EN: 0
; COMPUTE_PGM_RSRC2:USER_SGPR: 6
; COMPUTE_PGM_RSRC2:TRAP_HANDLER: 0
; COMPUTE_PGM_RSRC2:TGID_X_EN: 1
; COMPUTE_PGM_RSRC2:TGID_Y_EN: 0
; COMPUTE_PGM_RSRC2:TGID_Z_EN: 0
; COMPUTE_PGM_RSRC2:TIDIG_COMP_CNT: 0
; COMPUTE_PGM_RSRC3_GFX90A:ACCUM_OFFSET: 0
; COMPUTE_PGM_RSRC3_GFX90A:TG_SPLIT: 0
	.section	.text._ZN7rocprim17ROCPRIM_400000_NS6detail17trampoline_kernelINS0_14default_configENS1_27scan_by_key_config_selectorImiEEZZNS1_16scan_by_key_implILNS1_25lookback_scan_determinismE0ELb0ES3_N6thrust23THRUST_200600_302600_NS18transform_iteratorI9row_indexNS9_17counting_iteratorImNS9_11use_defaultESD_SD_EESD_SD_EENS9_6detail15normal_iteratorINS9_10device_ptrIiEEEESK_iNS9_4plusIvEENS9_8equal_toIvEEiEE10hipError_tPvRmT2_T3_T4_T5_mT6_T7_P12ihipStream_tbENKUlT_T0_E_clISt17integral_constantIbLb0EES15_EEDaS10_S11_EUlS10_E_NS1_11comp_targetILNS1_3genE8ELNS1_11target_archE1030ELNS1_3gpuE2ELNS1_3repE0EEENS1_30default_config_static_selectorELNS0_4arch9wavefront6targetE1EEEvT1_,"axG",@progbits,_ZN7rocprim17ROCPRIM_400000_NS6detail17trampoline_kernelINS0_14default_configENS1_27scan_by_key_config_selectorImiEEZZNS1_16scan_by_key_implILNS1_25lookback_scan_determinismE0ELb0ES3_N6thrust23THRUST_200600_302600_NS18transform_iteratorI9row_indexNS9_17counting_iteratorImNS9_11use_defaultESD_SD_EESD_SD_EENS9_6detail15normal_iteratorINS9_10device_ptrIiEEEESK_iNS9_4plusIvEENS9_8equal_toIvEEiEE10hipError_tPvRmT2_T3_T4_T5_mT6_T7_P12ihipStream_tbENKUlT_T0_E_clISt17integral_constantIbLb0EES15_EEDaS10_S11_EUlS10_E_NS1_11comp_targetILNS1_3genE8ELNS1_11target_archE1030ELNS1_3gpuE2ELNS1_3repE0EEENS1_30default_config_static_selectorELNS0_4arch9wavefront6targetE1EEEvT1_,comdat
	.protected	_ZN7rocprim17ROCPRIM_400000_NS6detail17trampoline_kernelINS0_14default_configENS1_27scan_by_key_config_selectorImiEEZZNS1_16scan_by_key_implILNS1_25lookback_scan_determinismE0ELb0ES3_N6thrust23THRUST_200600_302600_NS18transform_iteratorI9row_indexNS9_17counting_iteratorImNS9_11use_defaultESD_SD_EESD_SD_EENS9_6detail15normal_iteratorINS9_10device_ptrIiEEEESK_iNS9_4plusIvEENS9_8equal_toIvEEiEE10hipError_tPvRmT2_T3_T4_T5_mT6_T7_P12ihipStream_tbENKUlT_T0_E_clISt17integral_constantIbLb0EES15_EEDaS10_S11_EUlS10_E_NS1_11comp_targetILNS1_3genE8ELNS1_11target_archE1030ELNS1_3gpuE2ELNS1_3repE0EEENS1_30default_config_static_selectorELNS0_4arch9wavefront6targetE1EEEvT1_ ; -- Begin function _ZN7rocprim17ROCPRIM_400000_NS6detail17trampoline_kernelINS0_14default_configENS1_27scan_by_key_config_selectorImiEEZZNS1_16scan_by_key_implILNS1_25lookback_scan_determinismE0ELb0ES3_N6thrust23THRUST_200600_302600_NS18transform_iteratorI9row_indexNS9_17counting_iteratorImNS9_11use_defaultESD_SD_EESD_SD_EENS9_6detail15normal_iteratorINS9_10device_ptrIiEEEESK_iNS9_4plusIvEENS9_8equal_toIvEEiEE10hipError_tPvRmT2_T3_T4_T5_mT6_T7_P12ihipStream_tbENKUlT_T0_E_clISt17integral_constantIbLb0EES15_EEDaS10_S11_EUlS10_E_NS1_11comp_targetILNS1_3genE8ELNS1_11target_archE1030ELNS1_3gpuE2ELNS1_3repE0EEENS1_30default_config_static_selectorELNS0_4arch9wavefront6targetE1EEEvT1_
	.globl	_ZN7rocprim17ROCPRIM_400000_NS6detail17trampoline_kernelINS0_14default_configENS1_27scan_by_key_config_selectorImiEEZZNS1_16scan_by_key_implILNS1_25lookback_scan_determinismE0ELb0ES3_N6thrust23THRUST_200600_302600_NS18transform_iteratorI9row_indexNS9_17counting_iteratorImNS9_11use_defaultESD_SD_EESD_SD_EENS9_6detail15normal_iteratorINS9_10device_ptrIiEEEESK_iNS9_4plusIvEENS9_8equal_toIvEEiEE10hipError_tPvRmT2_T3_T4_T5_mT6_T7_P12ihipStream_tbENKUlT_T0_E_clISt17integral_constantIbLb0EES15_EEDaS10_S11_EUlS10_E_NS1_11comp_targetILNS1_3genE8ELNS1_11target_archE1030ELNS1_3gpuE2ELNS1_3repE0EEENS1_30default_config_static_selectorELNS0_4arch9wavefront6targetE1EEEvT1_
	.p2align	8
	.type	_ZN7rocprim17ROCPRIM_400000_NS6detail17trampoline_kernelINS0_14default_configENS1_27scan_by_key_config_selectorImiEEZZNS1_16scan_by_key_implILNS1_25lookback_scan_determinismE0ELb0ES3_N6thrust23THRUST_200600_302600_NS18transform_iteratorI9row_indexNS9_17counting_iteratorImNS9_11use_defaultESD_SD_EESD_SD_EENS9_6detail15normal_iteratorINS9_10device_ptrIiEEEESK_iNS9_4plusIvEENS9_8equal_toIvEEiEE10hipError_tPvRmT2_T3_T4_T5_mT6_T7_P12ihipStream_tbENKUlT_T0_E_clISt17integral_constantIbLb0EES15_EEDaS10_S11_EUlS10_E_NS1_11comp_targetILNS1_3genE8ELNS1_11target_archE1030ELNS1_3gpuE2ELNS1_3repE0EEENS1_30default_config_static_selectorELNS0_4arch9wavefront6targetE1EEEvT1_,@function
_ZN7rocprim17ROCPRIM_400000_NS6detail17trampoline_kernelINS0_14default_configENS1_27scan_by_key_config_selectorImiEEZZNS1_16scan_by_key_implILNS1_25lookback_scan_determinismE0ELb0ES3_N6thrust23THRUST_200600_302600_NS18transform_iteratorI9row_indexNS9_17counting_iteratorImNS9_11use_defaultESD_SD_EESD_SD_EENS9_6detail15normal_iteratorINS9_10device_ptrIiEEEESK_iNS9_4plusIvEENS9_8equal_toIvEEiEE10hipError_tPvRmT2_T3_T4_T5_mT6_T7_P12ihipStream_tbENKUlT_T0_E_clISt17integral_constantIbLb0EES15_EEDaS10_S11_EUlS10_E_NS1_11comp_targetILNS1_3genE8ELNS1_11target_archE1030ELNS1_3gpuE2ELNS1_3repE0EEENS1_30default_config_static_selectorELNS0_4arch9wavefront6targetE1EEEvT1_: ; @_ZN7rocprim17ROCPRIM_400000_NS6detail17trampoline_kernelINS0_14default_configENS1_27scan_by_key_config_selectorImiEEZZNS1_16scan_by_key_implILNS1_25lookback_scan_determinismE0ELb0ES3_N6thrust23THRUST_200600_302600_NS18transform_iteratorI9row_indexNS9_17counting_iteratorImNS9_11use_defaultESD_SD_EESD_SD_EENS9_6detail15normal_iteratorINS9_10device_ptrIiEEEESK_iNS9_4plusIvEENS9_8equal_toIvEEiEE10hipError_tPvRmT2_T3_T4_T5_mT6_T7_P12ihipStream_tbENKUlT_T0_E_clISt17integral_constantIbLb0EES15_EEDaS10_S11_EUlS10_E_NS1_11comp_targetILNS1_3genE8ELNS1_11target_archE1030ELNS1_3gpuE2ELNS1_3repE0EEENS1_30default_config_static_selectorELNS0_4arch9wavefront6targetE1EEEvT1_
; %bb.0:
	.section	.rodata,"a",@progbits
	.p2align	6, 0x0
	.amdhsa_kernel _ZN7rocprim17ROCPRIM_400000_NS6detail17trampoline_kernelINS0_14default_configENS1_27scan_by_key_config_selectorImiEEZZNS1_16scan_by_key_implILNS1_25lookback_scan_determinismE0ELb0ES3_N6thrust23THRUST_200600_302600_NS18transform_iteratorI9row_indexNS9_17counting_iteratorImNS9_11use_defaultESD_SD_EESD_SD_EENS9_6detail15normal_iteratorINS9_10device_ptrIiEEEESK_iNS9_4plusIvEENS9_8equal_toIvEEiEE10hipError_tPvRmT2_T3_T4_T5_mT6_T7_P12ihipStream_tbENKUlT_T0_E_clISt17integral_constantIbLb0EES15_EEDaS10_S11_EUlS10_E_NS1_11comp_targetILNS1_3genE8ELNS1_11target_archE1030ELNS1_3gpuE2ELNS1_3repE0EEENS1_30default_config_static_selectorELNS0_4arch9wavefront6targetE1EEEvT1_
		.amdhsa_group_segment_fixed_size 0
		.amdhsa_private_segment_fixed_size 0
		.amdhsa_kernarg_size 120
		.amdhsa_user_sgpr_count 6
		.amdhsa_user_sgpr_private_segment_buffer 1
		.amdhsa_user_sgpr_dispatch_ptr 0
		.amdhsa_user_sgpr_queue_ptr 0
		.amdhsa_user_sgpr_kernarg_segment_ptr 1
		.amdhsa_user_sgpr_dispatch_id 0
		.amdhsa_user_sgpr_flat_scratch_init 0
		.amdhsa_user_sgpr_kernarg_preload_length 0
		.amdhsa_user_sgpr_kernarg_preload_offset 0
		.amdhsa_user_sgpr_private_segment_size 0
		.amdhsa_uses_dynamic_stack 0
		.amdhsa_system_sgpr_private_segment_wavefront_offset 0
		.amdhsa_system_sgpr_workgroup_id_x 1
		.amdhsa_system_sgpr_workgroup_id_y 0
		.amdhsa_system_sgpr_workgroup_id_z 0
		.amdhsa_system_sgpr_workgroup_info 0
		.amdhsa_system_vgpr_workitem_id 0
		.amdhsa_next_free_vgpr 1
		.amdhsa_next_free_sgpr 0
		.amdhsa_accum_offset 4
		.amdhsa_reserve_vcc 0
		.amdhsa_reserve_flat_scratch 0
		.amdhsa_float_round_mode_32 0
		.amdhsa_float_round_mode_16_64 0
		.amdhsa_float_denorm_mode_32 3
		.amdhsa_float_denorm_mode_16_64 3
		.amdhsa_dx10_clamp 1
		.amdhsa_ieee_mode 1
		.amdhsa_fp16_overflow 0
		.amdhsa_tg_split 0
		.amdhsa_exception_fp_ieee_invalid_op 0
		.amdhsa_exception_fp_denorm_src 0
		.amdhsa_exception_fp_ieee_div_zero 0
		.amdhsa_exception_fp_ieee_overflow 0
		.amdhsa_exception_fp_ieee_underflow 0
		.amdhsa_exception_fp_ieee_inexact 0
		.amdhsa_exception_int_div_zero 0
	.end_amdhsa_kernel
	.section	.text._ZN7rocprim17ROCPRIM_400000_NS6detail17trampoline_kernelINS0_14default_configENS1_27scan_by_key_config_selectorImiEEZZNS1_16scan_by_key_implILNS1_25lookback_scan_determinismE0ELb0ES3_N6thrust23THRUST_200600_302600_NS18transform_iteratorI9row_indexNS9_17counting_iteratorImNS9_11use_defaultESD_SD_EESD_SD_EENS9_6detail15normal_iteratorINS9_10device_ptrIiEEEESK_iNS9_4plusIvEENS9_8equal_toIvEEiEE10hipError_tPvRmT2_T3_T4_T5_mT6_T7_P12ihipStream_tbENKUlT_T0_E_clISt17integral_constantIbLb0EES15_EEDaS10_S11_EUlS10_E_NS1_11comp_targetILNS1_3genE8ELNS1_11target_archE1030ELNS1_3gpuE2ELNS1_3repE0EEENS1_30default_config_static_selectorELNS0_4arch9wavefront6targetE1EEEvT1_,"axG",@progbits,_ZN7rocprim17ROCPRIM_400000_NS6detail17trampoline_kernelINS0_14default_configENS1_27scan_by_key_config_selectorImiEEZZNS1_16scan_by_key_implILNS1_25lookback_scan_determinismE0ELb0ES3_N6thrust23THRUST_200600_302600_NS18transform_iteratorI9row_indexNS9_17counting_iteratorImNS9_11use_defaultESD_SD_EESD_SD_EENS9_6detail15normal_iteratorINS9_10device_ptrIiEEEESK_iNS9_4plusIvEENS9_8equal_toIvEEiEE10hipError_tPvRmT2_T3_T4_T5_mT6_T7_P12ihipStream_tbENKUlT_T0_E_clISt17integral_constantIbLb0EES15_EEDaS10_S11_EUlS10_E_NS1_11comp_targetILNS1_3genE8ELNS1_11target_archE1030ELNS1_3gpuE2ELNS1_3repE0EEENS1_30default_config_static_selectorELNS0_4arch9wavefront6targetE1EEEvT1_,comdat
.Lfunc_end11:
	.size	_ZN7rocprim17ROCPRIM_400000_NS6detail17trampoline_kernelINS0_14default_configENS1_27scan_by_key_config_selectorImiEEZZNS1_16scan_by_key_implILNS1_25lookback_scan_determinismE0ELb0ES3_N6thrust23THRUST_200600_302600_NS18transform_iteratorI9row_indexNS9_17counting_iteratorImNS9_11use_defaultESD_SD_EESD_SD_EENS9_6detail15normal_iteratorINS9_10device_ptrIiEEEESK_iNS9_4plusIvEENS9_8equal_toIvEEiEE10hipError_tPvRmT2_T3_T4_T5_mT6_T7_P12ihipStream_tbENKUlT_T0_E_clISt17integral_constantIbLb0EES15_EEDaS10_S11_EUlS10_E_NS1_11comp_targetILNS1_3genE8ELNS1_11target_archE1030ELNS1_3gpuE2ELNS1_3repE0EEENS1_30default_config_static_selectorELNS0_4arch9wavefront6targetE1EEEvT1_, .Lfunc_end11-_ZN7rocprim17ROCPRIM_400000_NS6detail17trampoline_kernelINS0_14default_configENS1_27scan_by_key_config_selectorImiEEZZNS1_16scan_by_key_implILNS1_25lookback_scan_determinismE0ELb0ES3_N6thrust23THRUST_200600_302600_NS18transform_iteratorI9row_indexNS9_17counting_iteratorImNS9_11use_defaultESD_SD_EESD_SD_EENS9_6detail15normal_iteratorINS9_10device_ptrIiEEEESK_iNS9_4plusIvEENS9_8equal_toIvEEiEE10hipError_tPvRmT2_T3_T4_T5_mT6_T7_P12ihipStream_tbENKUlT_T0_E_clISt17integral_constantIbLb0EES15_EEDaS10_S11_EUlS10_E_NS1_11comp_targetILNS1_3genE8ELNS1_11target_archE1030ELNS1_3gpuE2ELNS1_3repE0EEENS1_30default_config_static_selectorELNS0_4arch9wavefront6targetE1EEEvT1_
                                        ; -- End function
	.section	.AMDGPU.csdata,"",@progbits
; Kernel info:
; codeLenInByte = 0
; NumSgprs: 4
; NumVgprs: 0
; NumAgprs: 0
; TotalNumVgprs: 0
; ScratchSize: 0
; MemoryBound: 0
; FloatMode: 240
; IeeeMode: 1
; LDSByteSize: 0 bytes/workgroup (compile time only)
; SGPRBlocks: 0
; VGPRBlocks: 0
; NumSGPRsForWavesPerEU: 4
; NumVGPRsForWavesPerEU: 1
; AccumOffset: 4
; Occupancy: 8
; WaveLimiterHint : 0
; COMPUTE_PGM_RSRC2:SCRATCH_EN: 0
; COMPUTE_PGM_RSRC2:USER_SGPR: 6
; COMPUTE_PGM_RSRC2:TRAP_HANDLER: 0
; COMPUTE_PGM_RSRC2:TGID_X_EN: 1
; COMPUTE_PGM_RSRC2:TGID_Y_EN: 0
; COMPUTE_PGM_RSRC2:TGID_Z_EN: 0
; COMPUTE_PGM_RSRC2:TIDIG_COMP_CNT: 0
; COMPUTE_PGM_RSRC3_GFX90A:ACCUM_OFFSET: 0
; COMPUTE_PGM_RSRC3_GFX90A:TG_SPLIT: 0
	.section	.text._ZN7rocprim17ROCPRIM_400000_NS6detail30init_device_scan_by_key_kernelINS1_19lookback_scan_stateINS0_5tupleIJibEEELb1ELb1EEEN6thrust23THRUST_200600_302600_NS18transform_iteratorI9row_indexNS8_17counting_iteratorImNS8_11use_defaultESC_SC_EESC_SC_EEjNS1_16block_id_wrapperIjLb1EEEEEvT_jjPNSH_10value_typeET0_PNSt15iterator_traitsISK_E10value_typeEmT1_T2_,"axG",@progbits,_ZN7rocprim17ROCPRIM_400000_NS6detail30init_device_scan_by_key_kernelINS1_19lookback_scan_stateINS0_5tupleIJibEEELb1ELb1EEEN6thrust23THRUST_200600_302600_NS18transform_iteratorI9row_indexNS8_17counting_iteratorImNS8_11use_defaultESC_SC_EESC_SC_EEjNS1_16block_id_wrapperIjLb1EEEEEvT_jjPNSH_10value_typeET0_PNSt15iterator_traitsISK_E10value_typeEmT1_T2_,comdat
	.protected	_ZN7rocprim17ROCPRIM_400000_NS6detail30init_device_scan_by_key_kernelINS1_19lookback_scan_stateINS0_5tupleIJibEEELb1ELb1EEEN6thrust23THRUST_200600_302600_NS18transform_iteratorI9row_indexNS8_17counting_iteratorImNS8_11use_defaultESC_SC_EESC_SC_EEjNS1_16block_id_wrapperIjLb1EEEEEvT_jjPNSH_10value_typeET0_PNSt15iterator_traitsISK_E10value_typeEmT1_T2_ ; -- Begin function _ZN7rocprim17ROCPRIM_400000_NS6detail30init_device_scan_by_key_kernelINS1_19lookback_scan_stateINS0_5tupleIJibEEELb1ELb1EEEN6thrust23THRUST_200600_302600_NS18transform_iteratorI9row_indexNS8_17counting_iteratorImNS8_11use_defaultESC_SC_EESC_SC_EEjNS1_16block_id_wrapperIjLb1EEEEEvT_jjPNSH_10value_typeET0_PNSt15iterator_traitsISK_E10value_typeEmT1_T2_
	.globl	_ZN7rocprim17ROCPRIM_400000_NS6detail30init_device_scan_by_key_kernelINS1_19lookback_scan_stateINS0_5tupleIJibEEELb1ELb1EEEN6thrust23THRUST_200600_302600_NS18transform_iteratorI9row_indexNS8_17counting_iteratorImNS8_11use_defaultESC_SC_EESC_SC_EEjNS1_16block_id_wrapperIjLb1EEEEEvT_jjPNSH_10value_typeET0_PNSt15iterator_traitsISK_E10value_typeEmT1_T2_
	.p2align	8
	.type	_ZN7rocprim17ROCPRIM_400000_NS6detail30init_device_scan_by_key_kernelINS1_19lookback_scan_stateINS0_5tupleIJibEEELb1ELb1EEEN6thrust23THRUST_200600_302600_NS18transform_iteratorI9row_indexNS8_17counting_iteratorImNS8_11use_defaultESC_SC_EESC_SC_EEjNS1_16block_id_wrapperIjLb1EEEEEvT_jjPNSH_10value_typeET0_PNSt15iterator_traitsISK_E10value_typeEmT1_T2_,@function
_ZN7rocprim17ROCPRIM_400000_NS6detail30init_device_scan_by_key_kernelINS1_19lookback_scan_stateINS0_5tupleIJibEEELb1ELb1EEEN6thrust23THRUST_200600_302600_NS18transform_iteratorI9row_indexNS8_17counting_iteratorImNS8_11use_defaultESC_SC_EESC_SC_EEjNS1_16block_id_wrapperIjLb1EEEEEvT_jjPNSH_10value_typeET0_PNSt15iterator_traitsISK_E10value_typeEmT1_T2_: ; @_ZN7rocprim17ROCPRIM_400000_NS6detail30init_device_scan_by_key_kernelINS1_19lookback_scan_stateINS0_5tupleIJibEEELb1ELb1EEEN6thrust23THRUST_200600_302600_NS18transform_iteratorI9row_indexNS8_17counting_iteratorImNS8_11use_defaultESC_SC_EESC_SC_EEjNS1_16block_id_wrapperIjLb1EEEEEvT_jjPNSH_10value_typeET0_PNSt15iterator_traitsISK_E10value_typeEmT1_T2_
; %bb.0:
	s_load_dword s0, s[4:5], 0x54
	s_load_dwordx8 s[8:15], s[4:5], 0x0
	s_load_dword s18, s[4:5], 0x48
	s_waitcnt lgkmcnt(0)
	s_and_b32 s19, s0, 0xffff
	s_mul_i32 s6, s6, s19
	s_cmp_eq_u64 s[12:13], 0
	v_add_u32_e32 v4, s6, v0
	s_cbranch_scc1 .LBB12_10
; %bb.1:
	s_cmp_lt_u32 s11, s10
	s_cselect_b32 s0, s11, 0
	s_mov_b32 s3, 0
	v_cmp_eq_u32_e32 vcc, s0, v4
	s_and_saveexec_b64 s[0:1], vcc
	s_cbranch_execz .LBB12_9
; %bb.2:
	s_add_i32 s2, s11, 64
	s_lshl_b64 s[2:3], s[2:3], 4
	s_add_u32 s16, s8, s2
	s_addc_u32 s17, s9, s3
	v_pk_mov_b32 v[0:1], s[16:17], s[16:17] op_sel:[0,1]
	;;#ASMSTART
	global_load_dwordx4 v[0:3], v[0:1] off glc	
s_waitcnt vmcnt(0)
	;;#ASMEND
	v_mov_b32_e32 v7, 0
	v_and_b32_e32 v6, 0xff, v2
	s_mov_b64 s[6:7], 0
	v_cmp_eq_u64_e32 vcc, 0, v[6:7]
	s_and_saveexec_b64 s[2:3], vcc
	s_cbranch_execz .LBB12_8
; %bb.3:
	s_mov_b32 s11, 1
	v_pk_mov_b32 v[8:9], s[16:17], s[16:17] op_sel:[0,1]
.LBB12_4:                               ; =>This Loop Header: Depth=1
                                        ;     Child Loop BB12_5 Depth 2
	s_max_u32 s16, s11, 1
.LBB12_5:                               ;   Parent Loop BB12_4 Depth=1
                                        ; =>  This Inner Loop Header: Depth=2
	s_add_i32 s16, s16, -1
	s_cmp_eq_u32 s16, 0
	s_sleep 1
	s_cbranch_scc0 .LBB12_5
; %bb.6:                                ;   in Loop: Header=BB12_4 Depth=1
	s_cmp_lt_u32 s11, 32
	s_cselect_b64 s[16:17], -1, 0
	s_cmp_lg_u64 s[16:17], 0
	;;#ASMSTART
	global_load_dwordx4 v[0:3], v[8:9] off glc	
s_waitcnt vmcnt(0)
	;;#ASMEND
	v_and_b32_e32 v6, 0xff, v2
	s_addc_u32 s11, s11, 0
	v_cmp_ne_u64_e32 vcc, 0, v[6:7]
	s_or_b64 s[6:7], vcc, s[6:7]
	s_andn2_b64 exec, exec, s[6:7]
	s_cbranch_execnz .LBB12_4
; %bb.7:
	s_or_b64 exec, exec, s[6:7]
.LBB12_8:
	s_or_b64 exec, exec, s[2:3]
	v_mov_b32_e32 v2, 0
	global_store_dword v2, v0, s[12:13]
	global_store_byte v2, v1, s[12:13] offset:4
.LBB12_9:
	s_or_b64 exec, exec, s[0:1]
.LBB12_10:
	v_cmp_eq_u32_e32 vcc, 0, v4
	s_and_saveexec_b64 s[0:1], vcc
	s_cbranch_execz .LBB12_12
; %bb.11:
	s_load_dwordx2 s[2:3], s[4:5], 0x40
	v_mov_b32_e32 v0, 0
	s_waitcnt lgkmcnt(0)
	global_store_dword v0, v0, s[2:3]
.LBB12_12:
	s_or_b64 exec, exec, s[0:1]
	v_cmp_gt_u32_e32 vcc, s10, v4
	s_and_saveexec_b64 s[0:1], vcc
	s_cbranch_execz .LBB12_14
; %bb.13:
	v_add_u32_e32 v0, 64, v4
	v_mov_b32_e32 v1, 0
	v_lshlrev_b64 v[2:3], 4, v[0:1]
	v_mov_b32_e32 v0, s9
	v_add_co_u32_e32 v6, vcc, s8, v2
	v_addc_co_u32_e32 v7, vcc, v0, v3, vcc
	v_mov_b32_e32 v0, v1
	v_mov_b32_e32 v2, v1
	;; [unrolled: 1-line block ×3, first 2 shown]
	global_store_dwordx4 v[6:7], v[0:3], off
.LBB12_14:
	s_or_b64 exec, exec, s[0:1]
	v_cmp_gt_u32_e32 vcc, 64, v4
	v_mov_b32_e32 v5, 0
	s_and_saveexec_b64 s[0:1], vcc
	s_cbranch_execz .LBB12_16
; %bb.15:
	v_lshlrev_b64 v[0:1], 4, v[4:5]
	v_mov_b32_e32 v2, s9
	v_add_co_u32_e32 v6, vcc, s8, v0
	v_addc_co_u32_e32 v7, vcc, v2, v1, vcc
	v_mov_b32_e32 v2, 0xff
	v_mov_b32_e32 v0, v5
	;; [unrolled: 1-line block ×4, first 2 shown]
	global_store_dwordx4 v[6:7], v[0:3], off
.LBB12_16:
	s_or_b64 exec, exec, s[0:1]
	s_load_dwordx2 s[2:3], s[4:5], 0x30
	s_waitcnt lgkmcnt(0)
	v_cmp_gt_u64_e32 vcc, s[2:3], v[4:5]
	s_and_saveexec_b64 s[0:1], vcc
	s_cbranch_execz .LBB12_23
; %bb.17:
	s_load_dword s6, s[4:5], 0x38
	s_load_dwordx4 s[8:11], s[4:5], 0x20
	v_lshlrev_b64 v[2:3], 3, v[4:5]
	s_mul_i32 s4, s18, s19
	s_mov_b32 s5, 0
	s_waitcnt lgkmcnt(0)
	s_add_i32 s0, s6, -1
	v_cvt_f32_u32_e32 v6, s8
	v_cvt_f32_u32_e32 v7, s9
	v_mov_b32_e32 v8, s11
	v_add_co_u32_e32 v2, vcc, s10, v2
	v_madmk_f32 v6, v7, 0x4f800000, v6
	v_rcp_f32_e32 v6, v6
	v_cvt_f32_u32_e32 v7, s8
	v_addc_co_u32_e32 v3, vcc, v8, v3, vcc
	v_mul_f32_e32 v6, 0x5f7ffffc, v6
	v_rcp_iflag_f32_e32 v7, v7
	v_mul_f32_e32 v8, 0x2f800000, v6
	v_trunc_f32_e32 v8, v8
	v_madmk_f32 v6, v8, 0xcf800000, v6
	v_cvt_u32_f32_e32 v10, v6
	v_mul_f32_e32 v6, 0x4f7ffffe, v7
	s_add_u32 s0, s0, s14
	v_cvt_u32_f32_e32 v11, v8
	v_cvt_u32_f32_e32 v12, v6
	s_addc_u32 s1, 0, s15
	v_pk_mov_b32 v[0:1], s[0:1], s[0:1] op_sel:[0,1]
	v_mad_u64_u32 v[0:1], s[0:1], s6, v4, v[0:1]
	s_mul_hi_u32 s14, s6, s4
	s_mul_i32 s15, s6, s4
	s_lshl_b64 s[6:7], s[4:5], 3
	s_mov_b64 s[10:11], 0
	v_mov_b32_e32 v6, 0
	s_branch .LBB12_19
.LBB12_18:                              ;   in Loop: Header=BB12_19 Depth=1
	s_or_b64 exec, exec, s[0:1]
	v_mov_b32_e32 v7, s5
	v_add_co_u32_e32 v4, vcc, s4, v4
	v_addc_co_u32_e32 v5, vcc, v5, v7, vcc
	v_mov_b32_e32 v7, s14
	v_add_co_u32_e32 v0, vcc, s15, v0
	v_addc_co_u32_e32 v1, vcc, v1, v7, vcc
	v_cmp_le_u64_e32 vcc, s[2:3], v[4:5]
	global_store_dwordx2 v[2:3], v[8:9], off
	v_mov_b32_e32 v7, s7
	s_or_b64 s[10:11], vcc, s[10:11]
	v_add_co_u32_e32 v2, vcc, s6, v2
	v_addc_co_u32_e32 v3, vcc, v3, v7, vcc
	s_andn2_b64 exec, exec, s[10:11]
	s_cbranch_execz .LBB12_23
.LBB12_19:                              ; =>This Inner Loop Header: Depth=1
	v_or_b32_e32 v7, s9, v1
	v_cmp_ne_u64_e32 vcc, 0, v[6:7]
                                        ; implicit-def: $vgpr8_vgpr9
	s_and_saveexec_b64 s[0:1], vcc
	s_xor_b64 s[12:13], exec, s[0:1]
	s_cbranch_execz .LBB12_21
; %bb.20:                               ;   in Loop: Header=BB12_19 Depth=1
	s_sub_u32 s0, 0, s8
	s_subb_u32 s1, 0, s9
	v_mul_hi_u32 v8, s0, v10
	v_mul_lo_u32 v9, s0, v11
	v_mul_lo_u32 v7, s1, v10
	v_add_u32_e32 v8, v8, v9
	v_add_u32_e32 v7, v8, v7
	v_mul_lo_u32 v13, s0, v10
	v_mul_lo_u32 v9, v10, v7
	v_mul_hi_u32 v14, v10, v13
	v_mul_hi_u32 v8, v10, v7
	v_add_co_u32_e32 v9, vcc, v14, v9
	v_addc_co_u32_e32 v8, vcc, 0, v8, vcc
	v_mul_hi_u32 v15, v11, v13
	v_mul_lo_u32 v13, v11, v13
	v_add_co_u32_e32 v9, vcc, v9, v13
	v_mul_hi_u32 v14, v11, v7
	v_addc_co_u32_e32 v8, vcc, v8, v15, vcc
	v_addc_co_u32_e32 v9, vcc, 0, v14, vcc
	v_mul_lo_u32 v7, v11, v7
	v_add_co_u32_e32 v7, vcc, v8, v7
	v_addc_co_u32_e32 v8, vcc, 0, v9, vcc
	v_add_co_u32_e32 v7, vcc, v10, v7
	v_addc_co_u32_e32 v8, vcc, v11, v8, vcc
	v_mul_lo_u32 v9, s0, v8
	v_mul_hi_u32 v13, s0, v7
	v_add_u32_e32 v9, v13, v9
	v_mul_lo_u32 v13, s1, v7
	v_add_u32_e32 v9, v9, v13
	v_mul_lo_u32 v14, s0, v7
	v_mul_hi_u32 v15, v8, v14
	v_mul_lo_u32 v16, v8, v14
	v_mul_lo_u32 v18, v7, v9
	v_mul_hi_u32 v14, v7, v14
	v_mul_hi_u32 v17, v7, v9
	v_add_co_u32_e32 v14, vcc, v14, v18
	v_addc_co_u32_e32 v17, vcc, 0, v17, vcc
	v_add_co_u32_e32 v14, vcc, v14, v16
	v_mul_hi_u32 v13, v8, v9
	v_addc_co_u32_e32 v14, vcc, v17, v15, vcc
	v_addc_co_u32_e32 v13, vcc, 0, v13, vcc
	v_mul_lo_u32 v9, v8, v9
	v_add_co_u32_e32 v9, vcc, v14, v9
	v_addc_co_u32_e32 v13, vcc, 0, v13, vcc
	v_add_co_u32_e32 v7, vcc, v7, v9
	v_addc_co_u32_e32 v13, vcc, v8, v13, vcc
	v_mad_u64_u32 v[8:9], s[0:1], v0, v13, 0
	v_mul_hi_u32 v14, v0, v7
	v_add_co_u32_e32 v16, vcc, v14, v8
	v_addc_co_u32_e32 v17, vcc, 0, v9, vcc
	v_mad_u64_u32 v[14:15], s[0:1], v1, v7, 0
	v_add_co_u32_e32 v7, vcc, v16, v14
	v_mad_u64_u32 v[8:9], s[0:1], v1, v13, 0
	v_addc_co_u32_e32 v7, vcc, v17, v15, vcc
	v_addc_co_u32_e32 v9, vcc, 0, v9, vcc
	v_add_co_u32_e32 v7, vcc, v7, v8
	v_addc_co_u32_e32 v13, vcc, 0, v9, vcc
	v_mul_lo_u32 v14, s9, v7
	v_mul_lo_u32 v15, s8, v13
	v_mad_u64_u32 v[8:9], s[0:1], s8, v7, 0
	v_add3_u32 v9, v9, v15, v14
	v_sub_u32_e32 v14, v1, v9
	v_mov_b32_e32 v15, s9
	v_sub_co_u32_e32 v8, vcc, v0, v8
	v_subb_co_u32_e64 v14, s[0:1], v14, v15, vcc
	v_subrev_co_u32_e64 v15, s[0:1], s8, v8
	v_subbrev_co_u32_e64 v14, s[0:1], 0, v14, s[0:1]
	v_cmp_le_u32_e64 s[0:1], s9, v14
	v_cndmask_b32_e64 v16, 0, -1, s[0:1]
	v_cmp_le_u32_e64 s[0:1], s8, v15
	v_cndmask_b32_e64 v15, 0, -1, s[0:1]
	v_cmp_eq_u32_e64 s[0:1], s9, v14
	v_cndmask_b32_e64 v14, v16, v15, s[0:1]
	v_add_co_u32_e64 v15, s[0:1], 2, v7
	v_addc_co_u32_e64 v16, s[0:1], 0, v13, s[0:1]
	v_add_co_u32_e64 v17, s[0:1], 1, v7
	v_addc_co_u32_e64 v18, s[0:1], 0, v13, s[0:1]
	v_subb_co_u32_e32 v9, vcc, v1, v9, vcc
	v_cmp_ne_u32_e64 s[0:1], 0, v14
	v_cmp_le_u32_e32 vcc, s9, v9
	v_cndmask_b32_e64 v14, v18, v16, s[0:1]
	v_cndmask_b32_e64 v16, 0, -1, vcc
	v_cmp_le_u32_e32 vcc, s8, v8
	v_cndmask_b32_e64 v8, 0, -1, vcc
	v_cmp_eq_u32_e32 vcc, s9, v9
	v_cndmask_b32_e32 v8, v16, v8, vcc
	v_cmp_ne_u32_e32 vcc, 0, v8
	v_cndmask_b32_e64 v8, v17, v15, s[0:1]
	v_cndmask_b32_e32 v9, v13, v14, vcc
	v_cndmask_b32_e32 v8, v7, v8, vcc
.LBB12_21:                              ;   in Loop: Header=BB12_19 Depth=1
	s_andn2_saveexec_b64 s[0:1], s[12:13]
	s_cbranch_execz .LBB12_18
; %bb.22:                               ;   in Loop: Header=BB12_19 Depth=1
	s_sub_i32 s12, 0, s8
	v_mul_lo_u32 v7, s12, v12
	v_mul_hi_u32 v7, v12, v7
	v_add_u32_e32 v7, v12, v7
	v_mul_hi_u32 v7, v0, v7
	v_mul_lo_u32 v8, v7, s8
	v_sub_u32_e32 v8, v0, v8
	v_subrev_u32_e32 v9, s8, v8
	v_cmp_le_u32_e32 vcc, s8, v8
	v_cndmask_b32_e32 v8, v8, v9, vcc
	v_add_u32_e32 v9, 1, v7
	v_cndmask_b32_e32 v7, v7, v9, vcc
	v_add_u32_e32 v9, 1, v7
	v_cmp_le_u32_e32 vcc, s8, v8
	v_cndmask_b32_e32 v8, v7, v9, vcc
	v_mov_b32_e32 v9, v6
	s_branch .LBB12_18
.LBB12_23:
	s_endpgm
	.section	.rodata,"a",@progbits
	.p2align	6, 0x0
	.amdhsa_kernel _ZN7rocprim17ROCPRIM_400000_NS6detail30init_device_scan_by_key_kernelINS1_19lookback_scan_stateINS0_5tupleIJibEEELb1ELb1EEEN6thrust23THRUST_200600_302600_NS18transform_iteratorI9row_indexNS8_17counting_iteratorImNS8_11use_defaultESC_SC_EESC_SC_EEjNS1_16block_id_wrapperIjLb1EEEEEvT_jjPNSH_10value_typeET0_PNSt15iterator_traitsISK_E10value_typeEmT1_T2_
		.amdhsa_group_segment_fixed_size 0
		.amdhsa_private_segment_fixed_size 0
		.amdhsa_kernarg_size 328
		.amdhsa_user_sgpr_count 6
		.amdhsa_user_sgpr_private_segment_buffer 1
		.amdhsa_user_sgpr_dispatch_ptr 0
		.amdhsa_user_sgpr_queue_ptr 0
		.amdhsa_user_sgpr_kernarg_segment_ptr 1
		.amdhsa_user_sgpr_dispatch_id 0
		.amdhsa_user_sgpr_flat_scratch_init 0
		.amdhsa_user_sgpr_kernarg_preload_length 0
		.amdhsa_user_sgpr_kernarg_preload_offset 0
		.amdhsa_user_sgpr_private_segment_size 0
		.amdhsa_uses_dynamic_stack 0
		.amdhsa_system_sgpr_private_segment_wavefront_offset 0
		.amdhsa_system_sgpr_workgroup_id_x 1
		.amdhsa_system_sgpr_workgroup_id_y 0
		.amdhsa_system_sgpr_workgroup_id_z 0
		.amdhsa_system_sgpr_workgroup_info 0
		.amdhsa_system_vgpr_workitem_id 0
		.amdhsa_next_free_vgpr 19
		.amdhsa_next_free_sgpr 20
		.amdhsa_accum_offset 20
		.amdhsa_reserve_vcc 1
		.amdhsa_reserve_flat_scratch 0
		.amdhsa_float_round_mode_32 0
		.amdhsa_float_round_mode_16_64 0
		.amdhsa_float_denorm_mode_32 3
		.amdhsa_float_denorm_mode_16_64 3
		.amdhsa_dx10_clamp 1
		.amdhsa_ieee_mode 1
		.amdhsa_fp16_overflow 0
		.amdhsa_tg_split 0
		.amdhsa_exception_fp_ieee_invalid_op 0
		.amdhsa_exception_fp_denorm_src 0
		.amdhsa_exception_fp_ieee_div_zero 0
		.amdhsa_exception_fp_ieee_overflow 0
		.amdhsa_exception_fp_ieee_underflow 0
		.amdhsa_exception_fp_ieee_inexact 0
		.amdhsa_exception_int_div_zero 0
	.end_amdhsa_kernel
	.section	.text._ZN7rocprim17ROCPRIM_400000_NS6detail30init_device_scan_by_key_kernelINS1_19lookback_scan_stateINS0_5tupleIJibEEELb1ELb1EEEN6thrust23THRUST_200600_302600_NS18transform_iteratorI9row_indexNS8_17counting_iteratorImNS8_11use_defaultESC_SC_EESC_SC_EEjNS1_16block_id_wrapperIjLb1EEEEEvT_jjPNSH_10value_typeET0_PNSt15iterator_traitsISK_E10value_typeEmT1_T2_,"axG",@progbits,_ZN7rocprim17ROCPRIM_400000_NS6detail30init_device_scan_by_key_kernelINS1_19lookback_scan_stateINS0_5tupleIJibEEELb1ELb1EEEN6thrust23THRUST_200600_302600_NS18transform_iteratorI9row_indexNS8_17counting_iteratorImNS8_11use_defaultESC_SC_EESC_SC_EEjNS1_16block_id_wrapperIjLb1EEEEEvT_jjPNSH_10value_typeET0_PNSt15iterator_traitsISK_E10value_typeEmT1_T2_,comdat
.Lfunc_end12:
	.size	_ZN7rocprim17ROCPRIM_400000_NS6detail30init_device_scan_by_key_kernelINS1_19lookback_scan_stateINS0_5tupleIJibEEELb1ELb1EEEN6thrust23THRUST_200600_302600_NS18transform_iteratorI9row_indexNS8_17counting_iteratorImNS8_11use_defaultESC_SC_EESC_SC_EEjNS1_16block_id_wrapperIjLb1EEEEEvT_jjPNSH_10value_typeET0_PNSt15iterator_traitsISK_E10value_typeEmT1_T2_, .Lfunc_end12-_ZN7rocprim17ROCPRIM_400000_NS6detail30init_device_scan_by_key_kernelINS1_19lookback_scan_stateINS0_5tupleIJibEEELb1ELb1EEEN6thrust23THRUST_200600_302600_NS18transform_iteratorI9row_indexNS8_17counting_iteratorImNS8_11use_defaultESC_SC_EESC_SC_EEjNS1_16block_id_wrapperIjLb1EEEEEvT_jjPNSH_10value_typeET0_PNSt15iterator_traitsISK_E10value_typeEmT1_T2_
                                        ; -- End function
	.section	.AMDGPU.csdata,"",@progbits
; Kernel info:
; codeLenInByte = 1376
; NumSgprs: 24
; NumVgprs: 19
; NumAgprs: 0
; TotalNumVgprs: 19
; ScratchSize: 0
; MemoryBound: 0
; FloatMode: 240
; IeeeMode: 1
; LDSByteSize: 0 bytes/workgroup (compile time only)
; SGPRBlocks: 2
; VGPRBlocks: 2
; NumSGPRsForWavesPerEU: 24
; NumVGPRsForWavesPerEU: 19
; AccumOffset: 20
; Occupancy: 8
; WaveLimiterHint : 0
; COMPUTE_PGM_RSRC2:SCRATCH_EN: 0
; COMPUTE_PGM_RSRC2:USER_SGPR: 6
; COMPUTE_PGM_RSRC2:TRAP_HANDLER: 0
; COMPUTE_PGM_RSRC2:TGID_X_EN: 1
; COMPUTE_PGM_RSRC2:TGID_Y_EN: 0
; COMPUTE_PGM_RSRC2:TGID_Z_EN: 0
; COMPUTE_PGM_RSRC2:TIDIG_COMP_CNT: 0
; COMPUTE_PGM_RSRC3_GFX90A:ACCUM_OFFSET: 4
; COMPUTE_PGM_RSRC3_GFX90A:TG_SPLIT: 0
	.section	.text._ZN7rocprim17ROCPRIM_400000_NS6detail30init_device_scan_by_key_kernelINS1_19lookback_scan_stateINS0_5tupleIJibEEELb1ELb1EEENS1_16block_id_wrapperIjLb1EEEEEvT_jjPNS9_10value_typeET0_,"axG",@progbits,_ZN7rocprim17ROCPRIM_400000_NS6detail30init_device_scan_by_key_kernelINS1_19lookback_scan_stateINS0_5tupleIJibEEELb1ELb1EEENS1_16block_id_wrapperIjLb1EEEEEvT_jjPNS9_10value_typeET0_,comdat
	.protected	_ZN7rocprim17ROCPRIM_400000_NS6detail30init_device_scan_by_key_kernelINS1_19lookback_scan_stateINS0_5tupleIJibEEELb1ELb1EEENS1_16block_id_wrapperIjLb1EEEEEvT_jjPNS9_10value_typeET0_ ; -- Begin function _ZN7rocprim17ROCPRIM_400000_NS6detail30init_device_scan_by_key_kernelINS1_19lookback_scan_stateINS0_5tupleIJibEEELb1ELb1EEENS1_16block_id_wrapperIjLb1EEEEEvT_jjPNS9_10value_typeET0_
	.globl	_ZN7rocprim17ROCPRIM_400000_NS6detail30init_device_scan_by_key_kernelINS1_19lookback_scan_stateINS0_5tupleIJibEEELb1ELb1EEENS1_16block_id_wrapperIjLb1EEEEEvT_jjPNS9_10value_typeET0_
	.p2align	8
	.type	_ZN7rocprim17ROCPRIM_400000_NS6detail30init_device_scan_by_key_kernelINS1_19lookback_scan_stateINS0_5tupleIJibEEELb1ELb1EEENS1_16block_id_wrapperIjLb1EEEEEvT_jjPNS9_10value_typeET0_,@function
_ZN7rocprim17ROCPRIM_400000_NS6detail30init_device_scan_by_key_kernelINS1_19lookback_scan_stateINS0_5tupleIJibEEELb1ELb1EEENS1_16block_id_wrapperIjLb1EEEEEvT_jjPNS9_10value_typeET0_: ; @_ZN7rocprim17ROCPRIM_400000_NS6detail30init_device_scan_by_key_kernelINS1_19lookback_scan_stateINS0_5tupleIJibEEELb1ELb1EEENS1_16block_id_wrapperIjLb1EEEEEvT_jjPNS9_10value_typeET0_
; %bb.0:
	s_load_dword s0, s[4:5], 0x2c
	s_load_dwordx8 s[8:15], s[4:5], 0x0
	s_waitcnt lgkmcnt(0)
	s_and_b32 s0, s0, 0xffff
	s_mul_i32 s6, s6, s0
	s_cmp_eq_u64 s[12:13], 0
	v_add_u32_e32 v0, s6, v0
	s_cbranch_scc1 .LBB13_10
; %bb.1:
	s_cmp_lt_u32 s11, s10
	s_cselect_b32 s0, s11, 0
	s_mov_b32 s3, 0
	v_cmp_eq_u32_e32 vcc, s0, v0
	s_and_saveexec_b64 s[0:1], vcc
	s_cbranch_execz .LBB13_9
; %bb.2:
	s_add_i32 s2, s11, 64
	s_lshl_b64 s[2:3], s[2:3], 4
	s_add_u32 s6, s8, s2
	s_addc_u32 s7, s9, s3
	v_pk_mov_b32 v[2:3], s[6:7], s[6:7] op_sel:[0,1]
	;;#ASMSTART
	global_load_dwordx4 v[2:5], v[2:3] off glc	
s_waitcnt vmcnt(0)
	;;#ASMEND
	v_mov_b32_e32 v7, 0
	v_and_b32_e32 v6, 0xff, v4
	s_mov_b64 s[4:5], 0
	v_cmp_eq_u64_e32 vcc, 0, v[6:7]
	s_and_saveexec_b64 s[2:3], vcc
	s_cbranch_execz .LBB13_8
; %bb.3:
	s_mov_b32 s11, 1
	v_pk_mov_b32 v[8:9], s[6:7], s[6:7] op_sel:[0,1]
.LBB13_4:                               ; =>This Loop Header: Depth=1
                                        ;     Child Loop BB13_5 Depth 2
	s_max_u32 s6, s11, 1
.LBB13_5:                               ;   Parent Loop BB13_4 Depth=1
                                        ; =>  This Inner Loop Header: Depth=2
	s_add_i32 s6, s6, -1
	s_cmp_eq_u32 s6, 0
	s_sleep 1
	s_cbranch_scc0 .LBB13_5
; %bb.6:                                ;   in Loop: Header=BB13_4 Depth=1
	s_cmp_lt_u32 s11, 32
	s_cselect_b64 s[6:7], -1, 0
	s_cmp_lg_u64 s[6:7], 0
	;;#ASMSTART
	global_load_dwordx4 v[2:5], v[8:9] off glc	
s_waitcnt vmcnt(0)
	;;#ASMEND
	v_and_b32_e32 v6, 0xff, v4
	s_addc_u32 s11, s11, 0
	v_cmp_ne_u64_e32 vcc, 0, v[6:7]
	s_or_b64 s[4:5], vcc, s[4:5]
	s_andn2_b64 exec, exec, s[4:5]
	s_cbranch_execnz .LBB13_4
; %bb.7:
	s_or_b64 exec, exec, s[4:5]
.LBB13_8:
	s_or_b64 exec, exec, s[2:3]
	v_mov_b32_e32 v1, 0
	global_store_dword v1, v2, s[12:13]
	global_store_byte v1, v3, s[12:13] offset:4
.LBB13_9:
	s_or_b64 exec, exec, s[0:1]
.LBB13_10:
	v_cmp_eq_u32_e32 vcc, 0, v0
	s_and_saveexec_b64 s[0:1], vcc
	s_cbranch_execnz .LBB13_14
; %bb.11:
	s_or_b64 exec, exec, s[0:1]
	v_cmp_gt_u32_e32 vcc, s10, v0
	s_and_saveexec_b64 s[0:1], vcc
	s_cbranch_execnz .LBB13_15
.LBB13_12:
	s_or_b64 exec, exec, s[0:1]
	v_cmp_gt_u32_e32 vcc, 64, v0
	s_and_saveexec_b64 s[0:1], vcc
	s_cbranch_execnz .LBB13_16
.LBB13_13:
	s_endpgm
.LBB13_14:
	v_mov_b32_e32 v1, 0
	global_store_dword v1, v1, s[14:15]
	s_or_b64 exec, exec, s[0:1]
	v_cmp_gt_u32_e32 vcc, s10, v0
	s_and_saveexec_b64 s[0:1], vcc
	s_cbranch_execz .LBB13_12
.LBB13_15:
	v_add_u32_e32 v2, 64, v0
	v_mov_b32_e32 v3, 0
	v_lshlrev_b64 v[4:5], 4, v[2:3]
	v_mov_b32_e32 v1, s9
	v_add_co_u32_e32 v6, vcc, s8, v4
	v_addc_co_u32_e32 v7, vcc, v1, v5, vcc
	v_mov_b32_e32 v2, v3
	v_mov_b32_e32 v4, v3
	;; [unrolled: 1-line block ×3, first 2 shown]
	global_store_dwordx4 v[6:7], v[2:5], off
	s_or_b64 exec, exec, s[0:1]
	v_cmp_gt_u32_e32 vcc, 64, v0
	s_and_saveexec_b64 s[0:1], vcc
	s_cbranch_execz .LBB13_13
.LBB13_16:
	v_mov_b32_e32 v1, 0
	v_lshlrev_b64 v[2:3], 4, v[0:1]
	v_mov_b32_e32 v0, s9
	v_add_co_u32_e32 v4, vcc, s8, v2
	v_addc_co_u32_e32 v5, vcc, v0, v3, vcc
	v_mov_b32_e32 v2, 0xff
	v_mov_b32_e32 v0, v1
	;; [unrolled: 1-line block ×3, first 2 shown]
	global_store_dwordx4 v[4:5], v[0:3], off
	s_endpgm
	.section	.rodata,"a",@progbits
	.p2align	6, 0x0
	.amdhsa_kernel _ZN7rocprim17ROCPRIM_400000_NS6detail30init_device_scan_by_key_kernelINS1_19lookback_scan_stateINS0_5tupleIJibEEELb1ELb1EEENS1_16block_id_wrapperIjLb1EEEEEvT_jjPNS9_10value_typeET0_
		.amdhsa_group_segment_fixed_size 0
		.amdhsa_private_segment_fixed_size 0
		.amdhsa_kernarg_size 288
		.amdhsa_user_sgpr_count 6
		.amdhsa_user_sgpr_private_segment_buffer 1
		.amdhsa_user_sgpr_dispatch_ptr 0
		.amdhsa_user_sgpr_queue_ptr 0
		.amdhsa_user_sgpr_kernarg_segment_ptr 1
		.amdhsa_user_sgpr_dispatch_id 0
		.amdhsa_user_sgpr_flat_scratch_init 0
		.amdhsa_user_sgpr_kernarg_preload_length 0
		.amdhsa_user_sgpr_kernarg_preload_offset 0
		.amdhsa_user_sgpr_private_segment_size 0
		.amdhsa_uses_dynamic_stack 0
		.amdhsa_system_sgpr_private_segment_wavefront_offset 0
		.amdhsa_system_sgpr_workgroup_id_x 1
		.amdhsa_system_sgpr_workgroup_id_y 0
		.amdhsa_system_sgpr_workgroup_id_z 0
		.amdhsa_system_sgpr_workgroup_info 0
		.amdhsa_system_vgpr_workitem_id 0
		.amdhsa_next_free_vgpr 10
		.amdhsa_next_free_sgpr 16
		.amdhsa_accum_offset 12
		.amdhsa_reserve_vcc 1
		.amdhsa_reserve_flat_scratch 0
		.amdhsa_float_round_mode_32 0
		.amdhsa_float_round_mode_16_64 0
		.amdhsa_float_denorm_mode_32 3
		.amdhsa_float_denorm_mode_16_64 3
		.amdhsa_dx10_clamp 1
		.amdhsa_ieee_mode 1
		.amdhsa_fp16_overflow 0
		.amdhsa_tg_split 0
		.amdhsa_exception_fp_ieee_invalid_op 0
		.amdhsa_exception_fp_denorm_src 0
		.amdhsa_exception_fp_ieee_div_zero 0
		.amdhsa_exception_fp_ieee_overflow 0
		.amdhsa_exception_fp_ieee_underflow 0
		.amdhsa_exception_fp_ieee_inexact 0
		.amdhsa_exception_int_div_zero 0
	.end_amdhsa_kernel
	.section	.text._ZN7rocprim17ROCPRIM_400000_NS6detail30init_device_scan_by_key_kernelINS1_19lookback_scan_stateINS0_5tupleIJibEEELb1ELb1EEENS1_16block_id_wrapperIjLb1EEEEEvT_jjPNS9_10value_typeET0_,"axG",@progbits,_ZN7rocprim17ROCPRIM_400000_NS6detail30init_device_scan_by_key_kernelINS1_19lookback_scan_stateINS0_5tupleIJibEEELb1ELb1EEENS1_16block_id_wrapperIjLb1EEEEEvT_jjPNS9_10value_typeET0_,comdat
.Lfunc_end13:
	.size	_ZN7rocprim17ROCPRIM_400000_NS6detail30init_device_scan_by_key_kernelINS1_19lookback_scan_stateINS0_5tupleIJibEEELb1ELb1EEENS1_16block_id_wrapperIjLb1EEEEEvT_jjPNS9_10value_typeET0_, .Lfunc_end13-_ZN7rocprim17ROCPRIM_400000_NS6detail30init_device_scan_by_key_kernelINS1_19lookback_scan_stateINS0_5tupleIJibEEELb1ELb1EEENS1_16block_id_wrapperIjLb1EEEEEvT_jjPNS9_10value_typeET0_
                                        ; -- End function
	.section	.AMDGPU.csdata,"",@progbits
; Kernel info:
; codeLenInByte = 448
; NumSgprs: 20
; NumVgprs: 10
; NumAgprs: 0
; TotalNumVgprs: 10
; ScratchSize: 0
; MemoryBound: 0
; FloatMode: 240
; IeeeMode: 1
; LDSByteSize: 0 bytes/workgroup (compile time only)
; SGPRBlocks: 2
; VGPRBlocks: 1
; NumSGPRsForWavesPerEU: 20
; NumVGPRsForWavesPerEU: 10
; AccumOffset: 12
; Occupancy: 8
; WaveLimiterHint : 0
; COMPUTE_PGM_RSRC2:SCRATCH_EN: 0
; COMPUTE_PGM_RSRC2:USER_SGPR: 6
; COMPUTE_PGM_RSRC2:TRAP_HANDLER: 0
; COMPUTE_PGM_RSRC2:TGID_X_EN: 1
; COMPUTE_PGM_RSRC2:TGID_Y_EN: 0
; COMPUTE_PGM_RSRC2:TGID_Z_EN: 0
; COMPUTE_PGM_RSRC2:TIDIG_COMP_CNT: 0
; COMPUTE_PGM_RSRC3_GFX90A:ACCUM_OFFSET: 2
; COMPUTE_PGM_RSRC3_GFX90A:TG_SPLIT: 0
	.section	.text._ZN7rocprim17ROCPRIM_400000_NS6detail17trampoline_kernelINS0_14default_configENS1_27scan_by_key_config_selectorImiEEZZNS1_16scan_by_key_implILNS1_25lookback_scan_determinismE0ELb0ES3_N6thrust23THRUST_200600_302600_NS18transform_iteratorI9row_indexNS9_17counting_iteratorImNS9_11use_defaultESD_SD_EESD_SD_EENS9_6detail15normal_iteratorINS9_10device_ptrIiEEEESK_iNS9_4plusIvEENS9_8equal_toIvEEiEE10hipError_tPvRmT2_T3_T4_T5_mT6_T7_P12ihipStream_tbENKUlT_T0_E_clISt17integral_constantIbLb1EES15_EEDaS10_S11_EUlS10_E_NS1_11comp_targetILNS1_3genE0ELNS1_11target_archE4294967295ELNS1_3gpuE0ELNS1_3repE0EEENS1_30default_config_static_selectorELNS0_4arch9wavefront6targetE1EEEvT1_,"axG",@progbits,_ZN7rocprim17ROCPRIM_400000_NS6detail17trampoline_kernelINS0_14default_configENS1_27scan_by_key_config_selectorImiEEZZNS1_16scan_by_key_implILNS1_25lookback_scan_determinismE0ELb0ES3_N6thrust23THRUST_200600_302600_NS18transform_iteratorI9row_indexNS9_17counting_iteratorImNS9_11use_defaultESD_SD_EESD_SD_EENS9_6detail15normal_iteratorINS9_10device_ptrIiEEEESK_iNS9_4plusIvEENS9_8equal_toIvEEiEE10hipError_tPvRmT2_T3_T4_T5_mT6_T7_P12ihipStream_tbENKUlT_T0_E_clISt17integral_constantIbLb1EES15_EEDaS10_S11_EUlS10_E_NS1_11comp_targetILNS1_3genE0ELNS1_11target_archE4294967295ELNS1_3gpuE0ELNS1_3repE0EEENS1_30default_config_static_selectorELNS0_4arch9wavefront6targetE1EEEvT1_,comdat
	.protected	_ZN7rocprim17ROCPRIM_400000_NS6detail17trampoline_kernelINS0_14default_configENS1_27scan_by_key_config_selectorImiEEZZNS1_16scan_by_key_implILNS1_25lookback_scan_determinismE0ELb0ES3_N6thrust23THRUST_200600_302600_NS18transform_iteratorI9row_indexNS9_17counting_iteratorImNS9_11use_defaultESD_SD_EESD_SD_EENS9_6detail15normal_iteratorINS9_10device_ptrIiEEEESK_iNS9_4plusIvEENS9_8equal_toIvEEiEE10hipError_tPvRmT2_T3_T4_T5_mT6_T7_P12ihipStream_tbENKUlT_T0_E_clISt17integral_constantIbLb1EES15_EEDaS10_S11_EUlS10_E_NS1_11comp_targetILNS1_3genE0ELNS1_11target_archE4294967295ELNS1_3gpuE0ELNS1_3repE0EEENS1_30default_config_static_selectorELNS0_4arch9wavefront6targetE1EEEvT1_ ; -- Begin function _ZN7rocprim17ROCPRIM_400000_NS6detail17trampoline_kernelINS0_14default_configENS1_27scan_by_key_config_selectorImiEEZZNS1_16scan_by_key_implILNS1_25lookback_scan_determinismE0ELb0ES3_N6thrust23THRUST_200600_302600_NS18transform_iteratorI9row_indexNS9_17counting_iteratorImNS9_11use_defaultESD_SD_EESD_SD_EENS9_6detail15normal_iteratorINS9_10device_ptrIiEEEESK_iNS9_4plusIvEENS9_8equal_toIvEEiEE10hipError_tPvRmT2_T3_T4_T5_mT6_T7_P12ihipStream_tbENKUlT_T0_E_clISt17integral_constantIbLb1EES15_EEDaS10_S11_EUlS10_E_NS1_11comp_targetILNS1_3genE0ELNS1_11target_archE4294967295ELNS1_3gpuE0ELNS1_3repE0EEENS1_30default_config_static_selectorELNS0_4arch9wavefront6targetE1EEEvT1_
	.globl	_ZN7rocprim17ROCPRIM_400000_NS6detail17trampoline_kernelINS0_14default_configENS1_27scan_by_key_config_selectorImiEEZZNS1_16scan_by_key_implILNS1_25lookback_scan_determinismE0ELb0ES3_N6thrust23THRUST_200600_302600_NS18transform_iteratorI9row_indexNS9_17counting_iteratorImNS9_11use_defaultESD_SD_EESD_SD_EENS9_6detail15normal_iteratorINS9_10device_ptrIiEEEESK_iNS9_4plusIvEENS9_8equal_toIvEEiEE10hipError_tPvRmT2_T3_T4_T5_mT6_T7_P12ihipStream_tbENKUlT_T0_E_clISt17integral_constantIbLb1EES15_EEDaS10_S11_EUlS10_E_NS1_11comp_targetILNS1_3genE0ELNS1_11target_archE4294967295ELNS1_3gpuE0ELNS1_3repE0EEENS1_30default_config_static_selectorELNS0_4arch9wavefront6targetE1EEEvT1_
	.p2align	8
	.type	_ZN7rocprim17ROCPRIM_400000_NS6detail17trampoline_kernelINS0_14default_configENS1_27scan_by_key_config_selectorImiEEZZNS1_16scan_by_key_implILNS1_25lookback_scan_determinismE0ELb0ES3_N6thrust23THRUST_200600_302600_NS18transform_iteratorI9row_indexNS9_17counting_iteratorImNS9_11use_defaultESD_SD_EESD_SD_EENS9_6detail15normal_iteratorINS9_10device_ptrIiEEEESK_iNS9_4plusIvEENS9_8equal_toIvEEiEE10hipError_tPvRmT2_T3_T4_T5_mT6_T7_P12ihipStream_tbENKUlT_T0_E_clISt17integral_constantIbLb1EES15_EEDaS10_S11_EUlS10_E_NS1_11comp_targetILNS1_3genE0ELNS1_11target_archE4294967295ELNS1_3gpuE0ELNS1_3repE0EEENS1_30default_config_static_selectorELNS0_4arch9wavefront6targetE1EEEvT1_,@function
_ZN7rocprim17ROCPRIM_400000_NS6detail17trampoline_kernelINS0_14default_configENS1_27scan_by_key_config_selectorImiEEZZNS1_16scan_by_key_implILNS1_25lookback_scan_determinismE0ELb0ES3_N6thrust23THRUST_200600_302600_NS18transform_iteratorI9row_indexNS9_17counting_iteratorImNS9_11use_defaultESD_SD_EESD_SD_EENS9_6detail15normal_iteratorINS9_10device_ptrIiEEEESK_iNS9_4plusIvEENS9_8equal_toIvEEiEE10hipError_tPvRmT2_T3_T4_T5_mT6_T7_P12ihipStream_tbENKUlT_T0_E_clISt17integral_constantIbLb1EES15_EEDaS10_S11_EUlS10_E_NS1_11comp_targetILNS1_3genE0ELNS1_11target_archE4294967295ELNS1_3gpuE0ELNS1_3repE0EEENS1_30default_config_static_selectorELNS0_4arch9wavefront6targetE1EEEvT1_: ; @_ZN7rocprim17ROCPRIM_400000_NS6detail17trampoline_kernelINS0_14default_configENS1_27scan_by_key_config_selectorImiEEZZNS1_16scan_by_key_implILNS1_25lookback_scan_determinismE0ELb0ES3_N6thrust23THRUST_200600_302600_NS18transform_iteratorI9row_indexNS9_17counting_iteratorImNS9_11use_defaultESD_SD_EESD_SD_EENS9_6detail15normal_iteratorINS9_10device_ptrIiEEEESK_iNS9_4plusIvEENS9_8equal_toIvEEiEE10hipError_tPvRmT2_T3_T4_T5_mT6_T7_P12ihipStream_tbENKUlT_T0_E_clISt17integral_constantIbLb1EES15_EEDaS10_S11_EUlS10_E_NS1_11comp_targetILNS1_3genE0ELNS1_11target_archE4294967295ELNS1_3gpuE0ELNS1_3repE0EEENS1_30default_config_static_selectorELNS0_4arch9wavefront6targetE1EEEvT1_
; %bb.0:
	.section	.rodata,"a",@progbits
	.p2align	6, 0x0
	.amdhsa_kernel _ZN7rocprim17ROCPRIM_400000_NS6detail17trampoline_kernelINS0_14default_configENS1_27scan_by_key_config_selectorImiEEZZNS1_16scan_by_key_implILNS1_25lookback_scan_determinismE0ELb0ES3_N6thrust23THRUST_200600_302600_NS18transform_iteratorI9row_indexNS9_17counting_iteratorImNS9_11use_defaultESD_SD_EESD_SD_EENS9_6detail15normal_iteratorINS9_10device_ptrIiEEEESK_iNS9_4plusIvEENS9_8equal_toIvEEiEE10hipError_tPvRmT2_T3_T4_T5_mT6_T7_P12ihipStream_tbENKUlT_T0_E_clISt17integral_constantIbLb1EES15_EEDaS10_S11_EUlS10_E_NS1_11comp_targetILNS1_3genE0ELNS1_11target_archE4294967295ELNS1_3gpuE0ELNS1_3repE0EEENS1_30default_config_static_selectorELNS0_4arch9wavefront6targetE1EEEvT1_
		.amdhsa_group_segment_fixed_size 0
		.amdhsa_private_segment_fixed_size 0
		.amdhsa_kernarg_size 120
		.amdhsa_user_sgpr_count 6
		.amdhsa_user_sgpr_private_segment_buffer 1
		.amdhsa_user_sgpr_dispatch_ptr 0
		.amdhsa_user_sgpr_queue_ptr 0
		.amdhsa_user_sgpr_kernarg_segment_ptr 1
		.amdhsa_user_sgpr_dispatch_id 0
		.amdhsa_user_sgpr_flat_scratch_init 0
		.amdhsa_user_sgpr_kernarg_preload_length 0
		.amdhsa_user_sgpr_kernarg_preload_offset 0
		.amdhsa_user_sgpr_private_segment_size 0
		.amdhsa_uses_dynamic_stack 0
		.amdhsa_system_sgpr_private_segment_wavefront_offset 0
		.amdhsa_system_sgpr_workgroup_id_x 1
		.amdhsa_system_sgpr_workgroup_id_y 0
		.amdhsa_system_sgpr_workgroup_id_z 0
		.amdhsa_system_sgpr_workgroup_info 0
		.amdhsa_system_vgpr_workitem_id 0
		.amdhsa_next_free_vgpr 1
		.amdhsa_next_free_sgpr 0
		.amdhsa_accum_offset 4
		.amdhsa_reserve_vcc 0
		.amdhsa_reserve_flat_scratch 0
		.amdhsa_float_round_mode_32 0
		.amdhsa_float_round_mode_16_64 0
		.amdhsa_float_denorm_mode_32 3
		.amdhsa_float_denorm_mode_16_64 3
		.amdhsa_dx10_clamp 1
		.amdhsa_ieee_mode 1
		.amdhsa_fp16_overflow 0
		.amdhsa_tg_split 0
		.amdhsa_exception_fp_ieee_invalid_op 0
		.amdhsa_exception_fp_denorm_src 0
		.amdhsa_exception_fp_ieee_div_zero 0
		.amdhsa_exception_fp_ieee_overflow 0
		.amdhsa_exception_fp_ieee_underflow 0
		.amdhsa_exception_fp_ieee_inexact 0
		.amdhsa_exception_int_div_zero 0
	.end_amdhsa_kernel
	.section	.text._ZN7rocprim17ROCPRIM_400000_NS6detail17trampoline_kernelINS0_14default_configENS1_27scan_by_key_config_selectorImiEEZZNS1_16scan_by_key_implILNS1_25lookback_scan_determinismE0ELb0ES3_N6thrust23THRUST_200600_302600_NS18transform_iteratorI9row_indexNS9_17counting_iteratorImNS9_11use_defaultESD_SD_EESD_SD_EENS9_6detail15normal_iteratorINS9_10device_ptrIiEEEESK_iNS9_4plusIvEENS9_8equal_toIvEEiEE10hipError_tPvRmT2_T3_T4_T5_mT6_T7_P12ihipStream_tbENKUlT_T0_E_clISt17integral_constantIbLb1EES15_EEDaS10_S11_EUlS10_E_NS1_11comp_targetILNS1_3genE0ELNS1_11target_archE4294967295ELNS1_3gpuE0ELNS1_3repE0EEENS1_30default_config_static_selectorELNS0_4arch9wavefront6targetE1EEEvT1_,"axG",@progbits,_ZN7rocprim17ROCPRIM_400000_NS6detail17trampoline_kernelINS0_14default_configENS1_27scan_by_key_config_selectorImiEEZZNS1_16scan_by_key_implILNS1_25lookback_scan_determinismE0ELb0ES3_N6thrust23THRUST_200600_302600_NS18transform_iteratorI9row_indexNS9_17counting_iteratorImNS9_11use_defaultESD_SD_EESD_SD_EENS9_6detail15normal_iteratorINS9_10device_ptrIiEEEESK_iNS9_4plusIvEENS9_8equal_toIvEEiEE10hipError_tPvRmT2_T3_T4_T5_mT6_T7_P12ihipStream_tbENKUlT_T0_E_clISt17integral_constantIbLb1EES15_EEDaS10_S11_EUlS10_E_NS1_11comp_targetILNS1_3genE0ELNS1_11target_archE4294967295ELNS1_3gpuE0ELNS1_3repE0EEENS1_30default_config_static_selectorELNS0_4arch9wavefront6targetE1EEEvT1_,comdat
.Lfunc_end14:
	.size	_ZN7rocprim17ROCPRIM_400000_NS6detail17trampoline_kernelINS0_14default_configENS1_27scan_by_key_config_selectorImiEEZZNS1_16scan_by_key_implILNS1_25lookback_scan_determinismE0ELb0ES3_N6thrust23THRUST_200600_302600_NS18transform_iteratorI9row_indexNS9_17counting_iteratorImNS9_11use_defaultESD_SD_EESD_SD_EENS9_6detail15normal_iteratorINS9_10device_ptrIiEEEESK_iNS9_4plusIvEENS9_8equal_toIvEEiEE10hipError_tPvRmT2_T3_T4_T5_mT6_T7_P12ihipStream_tbENKUlT_T0_E_clISt17integral_constantIbLb1EES15_EEDaS10_S11_EUlS10_E_NS1_11comp_targetILNS1_3genE0ELNS1_11target_archE4294967295ELNS1_3gpuE0ELNS1_3repE0EEENS1_30default_config_static_selectorELNS0_4arch9wavefront6targetE1EEEvT1_, .Lfunc_end14-_ZN7rocprim17ROCPRIM_400000_NS6detail17trampoline_kernelINS0_14default_configENS1_27scan_by_key_config_selectorImiEEZZNS1_16scan_by_key_implILNS1_25lookback_scan_determinismE0ELb0ES3_N6thrust23THRUST_200600_302600_NS18transform_iteratorI9row_indexNS9_17counting_iteratorImNS9_11use_defaultESD_SD_EESD_SD_EENS9_6detail15normal_iteratorINS9_10device_ptrIiEEEESK_iNS9_4plusIvEENS9_8equal_toIvEEiEE10hipError_tPvRmT2_T3_T4_T5_mT6_T7_P12ihipStream_tbENKUlT_T0_E_clISt17integral_constantIbLb1EES15_EEDaS10_S11_EUlS10_E_NS1_11comp_targetILNS1_3genE0ELNS1_11target_archE4294967295ELNS1_3gpuE0ELNS1_3repE0EEENS1_30default_config_static_selectorELNS0_4arch9wavefront6targetE1EEEvT1_
                                        ; -- End function
	.section	.AMDGPU.csdata,"",@progbits
; Kernel info:
; codeLenInByte = 0
; NumSgprs: 4
; NumVgprs: 0
; NumAgprs: 0
; TotalNumVgprs: 0
; ScratchSize: 0
; MemoryBound: 0
; FloatMode: 240
; IeeeMode: 1
; LDSByteSize: 0 bytes/workgroup (compile time only)
; SGPRBlocks: 0
; VGPRBlocks: 0
; NumSGPRsForWavesPerEU: 4
; NumVGPRsForWavesPerEU: 1
; AccumOffset: 4
; Occupancy: 8
; WaveLimiterHint : 0
; COMPUTE_PGM_RSRC2:SCRATCH_EN: 0
; COMPUTE_PGM_RSRC2:USER_SGPR: 6
; COMPUTE_PGM_RSRC2:TRAP_HANDLER: 0
; COMPUTE_PGM_RSRC2:TGID_X_EN: 1
; COMPUTE_PGM_RSRC2:TGID_Y_EN: 0
; COMPUTE_PGM_RSRC2:TGID_Z_EN: 0
; COMPUTE_PGM_RSRC2:TIDIG_COMP_CNT: 0
; COMPUTE_PGM_RSRC3_GFX90A:ACCUM_OFFSET: 0
; COMPUTE_PGM_RSRC3_GFX90A:TG_SPLIT: 0
	.section	.text._ZN7rocprim17ROCPRIM_400000_NS6detail17trampoline_kernelINS0_14default_configENS1_27scan_by_key_config_selectorImiEEZZNS1_16scan_by_key_implILNS1_25lookback_scan_determinismE0ELb0ES3_N6thrust23THRUST_200600_302600_NS18transform_iteratorI9row_indexNS9_17counting_iteratorImNS9_11use_defaultESD_SD_EESD_SD_EENS9_6detail15normal_iteratorINS9_10device_ptrIiEEEESK_iNS9_4plusIvEENS9_8equal_toIvEEiEE10hipError_tPvRmT2_T3_T4_T5_mT6_T7_P12ihipStream_tbENKUlT_T0_E_clISt17integral_constantIbLb1EES15_EEDaS10_S11_EUlS10_E_NS1_11comp_targetILNS1_3genE10ELNS1_11target_archE1201ELNS1_3gpuE5ELNS1_3repE0EEENS1_30default_config_static_selectorELNS0_4arch9wavefront6targetE1EEEvT1_,"axG",@progbits,_ZN7rocprim17ROCPRIM_400000_NS6detail17trampoline_kernelINS0_14default_configENS1_27scan_by_key_config_selectorImiEEZZNS1_16scan_by_key_implILNS1_25lookback_scan_determinismE0ELb0ES3_N6thrust23THRUST_200600_302600_NS18transform_iteratorI9row_indexNS9_17counting_iteratorImNS9_11use_defaultESD_SD_EESD_SD_EENS9_6detail15normal_iteratorINS9_10device_ptrIiEEEESK_iNS9_4plusIvEENS9_8equal_toIvEEiEE10hipError_tPvRmT2_T3_T4_T5_mT6_T7_P12ihipStream_tbENKUlT_T0_E_clISt17integral_constantIbLb1EES15_EEDaS10_S11_EUlS10_E_NS1_11comp_targetILNS1_3genE10ELNS1_11target_archE1201ELNS1_3gpuE5ELNS1_3repE0EEENS1_30default_config_static_selectorELNS0_4arch9wavefront6targetE1EEEvT1_,comdat
	.protected	_ZN7rocprim17ROCPRIM_400000_NS6detail17trampoline_kernelINS0_14default_configENS1_27scan_by_key_config_selectorImiEEZZNS1_16scan_by_key_implILNS1_25lookback_scan_determinismE0ELb0ES3_N6thrust23THRUST_200600_302600_NS18transform_iteratorI9row_indexNS9_17counting_iteratorImNS9_11use_defaultESD_SD_EESD_SD_EENS9_6detail15normal_iteratorINS9_10device_ptrIiEEEESK_iNS9_4plusIvEENS9_8equal_toIvEEiEE10hipError_tPvRmT2_T3_T4_T5_mT6_T7_P12ihipStream_tbENKUlT_T0_E_clISt17integral_constantIbLb1EES15_EEDaS10_S11_EUlS10_E_NS1_11comp_targetILNS1_3genE10ELNS1_11target_archE1201ELNS1_3gpuE5ELNS1_3repE0EEENS1_30default_config_static_selectorELNS0_4arch9wavefront6targetE1EEEvT1_ ; -- Begin function _ZN7rocprim17ROCPRIM_400000_NS6detail17trampoline_kernelINS0_14default_configENS1_27scan_by_key_config_selectorImiEEZZNS1_16scan_by_key_implILNS1_25lookback_scan_determinismE0ELb0ES3_N6thrust23THRUST_200600_302600_NS18transform_iteratorI9row_indexNS9_17counting_iteratorImNS9_11use_defaultESD_SD_EESD_SD_EENS9_6detail15normal_iteratorINS9_10device_ptrIiEEEESK_iNS9_4plusIvEENS9_8equal_toIvEEiEE10hipError_tPvRmT2_T3_T4_T5_mT6_T7_P12ihipStream_tbENKUlT_T0_E_clISt17integral_constantIbLb1EES15_EEDaS10_S11_EUlS10_E_NS1_11comp_targetILNS1_3genE10ELNS1_11target_archE1201ELNS1_3gpuE5ELNS1_3repE0EEENS1_30default_config_static_selectorELNS0_4arch9wavefront6targetE1EEEvT1_
	.globl	_ZN7rocprim17ROCPRIM_400000_NS6detail17trampoline_kernelINS0_14default_configENS1_27scan_by_key_config_selectorImiEEZZNS1_16scan_by_key_implILNS1_25lookback_scan_determinismE0ELb0ES3_N6thrust23THRUST_200600_302600_NS18transform_iteratorI9row_indexNS9_17counting_iteratorImNS9_11use_defaultESD_SD_EESD_SD_EENS9_6detail15normal_iteratorINS9_10device_ptrIiEEEESK_iNS9_4plusIvEENS9_8equal_toIvEEiEE10hipError_tPvRmT2_T3_T4_T5_mT6_T7_P12ihipStream_tbENKUlT_T0_E_clISt17integral_constantIbLb1EES15_EEDaS10_S11_EUlS10_E_NS1_11comp_targetILNS1_3genE10ELNS1_11target_archE1201ELNS1_3gpuE5ELNS1_3repE0EEENS1_30default_config_static_selectorELNS0_4arch9wavefront6targetE1EEEvT1_
	.p2align	8
	.type	_ZN7rocprim17ROCPRIM_400000_NS6detail17trampoline_kernelINS0_14default_configENS1_27scan_by_key_config_selectorImiEEZZNS1_16scan_by_key_implILNS1_25lookback_scan_determinismE0ELb0ES3_N6thrust23THRUST_200600_302600_NS18transform_iteratorI9row_indexNS9_17counting_iteratorImNS9_11use_defaultESD_SD_EESD_SD_EENS9_6detail15normal_iteratorINS9_10device_ptrIiEEEESK_iNS9_4plusIvEENS9_8equal_toIvEEiEE10hipError_tPvRmT2_T3_T4_T5_mT6_T7_P12ihipStream_tbENKUlT_T0_E_clISt17integral_constantIbLb1EES15_EEDaS10_S11_EUlS10_E_NS1_11comp_targetILNS1_3genE10ELNS1_11target_archE1201ELNS1_3gpuE5ELNS1_3repE0EEENS1_30default_config_static_selectorELNS0_4arch9wavefront6targetE1EEEvT1_,@function
_ZN7rocprim17ROCPRIM_400000_NS6detail17trampoline_kernelINS0_14default_configENS1_27scan_by_key_config_selectorImiEEZZNS1_16scan_by_key_implILNS1_25lookback_scan_determinismE0ELb0ES3_N6thrust23THRUST_200600_302600_NS18transform_iteratorI9row_indexNS9_17counting_iteratorImNS9_11use_defaultESD_SD_EESD_SD_EENS9_6detail15normal_iteratorINS9_10device_ptrIiEEEESK_iNS9_4plusIvEENS9_8equal_toIvEEiEE10hipError_tPvRmT2_T3_T4_T5_mT6_T7_P12ihipStream_tbENKUlT_T0_E_clISt17integral_constantIbLb1EES15_EEDaS10_S11_EUlS10_E_NS1_11comp_targetILNS1_3genE10ELNS1_11target_archE1201ELNS1_3gpuE5ELNS1_3repE0EEENS1_30default_config_static_selectorELNS0_4arch9wavefront6targetE1EEEvT1_: ; @_ZN7rocprim17ROCPRIM_400000_NS6detail17trampoline_kernelINS0_14default_configENS1_27scan_by_key_config_selectorImiEEZZNS1_16scan_by_key_implILNS1_25lookback_scan_determinismE0ELb0ES3_N6thrust23THRUST_200600_302600_NS18transform_iteratorI9row_indexNS9_17counting_iteratorImNS9_11use_defaultESD_SD_EESD_SD_EENS9_6detail15normal_iteratorINS9_10device_ptrIiEEEESK_iNS9_4plusIvEENS9_8equal_toIvEEiEE10hipError_tPvRmT2_T3_T4_T5_mT6_T7_P12ihipStream_tbENKUlT_T0_E_clISt17integral_constantIbLb1EES15_EEDaS10_S11_EUlS10_E_NS1_11comp_targetILNS1_3genE10ELNS1_11target_archE1201ELNS1_3gpuE5ELNS1_3repE0EEENS1_30default_config_static_selectorELNS0_4arch9wavefront6targetE1EEEvT1_
; %bb.0:
	.section	.rodata,"a",@progbits
	.p2align	6, 0x0
	.amdhsa_kernel _ZN7rocprim17ROCPRIM_400000_NS6detail17trampoline_kernelINS0_14default_configENS1_27scan_by_key_config_selectorImiEEZZNS1_16scan_by_key_implILNS1_25lookback_scan_determinismE0ELb0ES3_N6thrust23THRUST_200600_302600_NS18transform_iteratorI9row_indexNS9_17counting_iteratorImNS9_11use_defaultESD_SD_EESD_SD_EENS9_6detail15normal_iteratorINS9_10device_ptrIiEEEESK_iNS9_4plusIvEENS9_8equal_toIvEEiEE10hipError_tPvRmT2_T3_T4_T5_mT6_T7_P12ihipStream_tbENKUlT_T0_E_clISt17integral_constantIbLb1EES15_EEDaS10_S11_EUlS10_E_NS1_11comp_targetILNS1_3genE10ELNS1_11target_archE1201ELNS1_3gpuE5ELNS1_3repE0EEENS1_30default_config_static_selectorELNS0_4arch9wavefront6targetE1EEEvT1_
		.amdhsa_group_segment_fixed_size 0
		.amdhsa_private_segment_fixed_size 0
		.amdhsa_kernarg_size 120
		.amdhsa_user_sgpr_count 6
		.amdhsa_user_sgpr_private_segment_buffer 1
		.amdhsa_user_sgpr_dispatch_ptr 0
		.amdhsa_user_sgpr_queue_ptr 0
		.amdhsa_user_sgpr_kernarg_segment_ptr 1
		.amdhsa_user_sgpr_dispatch_id 0
		.amdhsa_user_sgpr_flat_scratch_init 0
		.amdhsa_user_sgpr_kernarg_preload_length 0
		.amdhsa_user_sgpr_kernarg_preload_offset 0
		.amdhsa_user_sgpr_private_segment_size 0
		.amdhsa_uses_dynamic_stack 0
		.amdhsa_system_sgpr_private_segment_wavefront_offset 0
		.amdhsa_system_sgpr_workgroup_id_x 1
		.amdhsa_system_sgpr_workgroup_id_y 0
		.amdhsa_system_sgpr_workgroup_id_z 0
		.amdhsa_system_sgpr_workgroup_info 0
		.amdhsa_system_vgpr_workitem_id 0
		.amdhsa_next_free_vgpr 1
		.amdhsa_next_free_sgpr 0
		.amdhsa_accum_offset 4
		.amdhsa_reserve_vcc 0
		.amdhsa_reserve_flat_scratch 0
		.amdhsa_float_round_mode_32 0
		.amdhsa_float_round_mode_16_64 0
		.amdhsa_float_denorm_mode_32 3
		.amdhsa_float_denorm_mode_16_64 3
		.amdhsa_dx10_clamp 1
		.amdhsa_ieee_mode 1
		.amdhsa_fp16_overflow 0
		.amdhsa_tg_split 0
		.amdhsa_exception_fp_ieee_invalid_op 0
		.amdhsa_exception_fp_denorm_src 0
		.amdhsa_exception_fp_ieee_div_zero 0
		.amdhsa_exception_fp_ieee_overflow 0
		.amdhsa_exception_fp_ieee_underflow 0
		.amdhsa_exception_fp_ieee_inexact 0
		.amdhsa_exception_int_div_zero 0
	.end_amdhsa_kernel
	.section	.text._ZN7rocprim17ROCPRIM_400000_NS6detail17trampoline_kernelINS0_14default_configENS1_27scan_by_key_config_selectorImiEEZZNS1_16scan_by_key_implILNS1_25lookback_scan_determinismE0ELb0ES3_N6thrust23THRUST_200600_302600_NS18transform_iteratorI9row_indexNS9_17counting_iteratorImNS9_11use_defaultESD_SD_EESD_SD_EENS9_6detail15normal_iteratorINS9_10device_ptrIiEEEESK_iNS9_4plusIvEENS9_8equal_toIvEEiEE10hipError_tPvRmT2_T3_T4_T5_mT6_T7_P12ihipStream_tbENKUlT_T0_E_clISt17integral_constantIbLb1EES15_EEDaS10_S11_EUlS10_E_NS1_11comp_targetILNS1_3genE10ELNS1_11target_archE1201ELNS1_3gpuE5ELNS1_3repE0EEENS1_30default_config_static_selectorELNS0_4arch9wavefront6targetE1EEEvT1_,"axG",@progbits,_ZN7rocprim17ROCPRIM_400000_NS6detail17trampoline_kernelINS0_14default_configENS1_27scan_by_key_config_selectorImiEEZZNS1_16scan_by_key_implILNS1_25lookback_scan_determinismE0ELb0ES3_N6thrust23THRUST_200600_302600_NS18transform_iteratorI9row_indexNS9_17counting_iteratorImNS9_11use_defaultESD_SD_EESD_SD_EENS9_6detail15normal_iteratorINS9_10device_ptrIiEEEESK_iNS9_4plusIvEENS9_8equal_toIvEEiEE10hipError_tPvRmT2_T3_T4_T5_mT6_T7_P12ihipStream_tbENKUlT_T0_E_clISt17integral_constantIbLb1EES15_EEDaS10_S11_EUlS10_E_NS1_11comp_targetILNS1_3genE10ELNS1_11target_archE1201ELNS1_3gpuE5ELNS1_3repE0EEENS1_30default_config_static_selectorELNS0_4arch9wavefront6targetE1EEEvT1_,comdat
.Lfunc_end15:
	.size	_ZN7rocprim17ROCPRIM_400000_NS6detail17trampoline_kernelINS0_14default_configENS1_27scan_by_key_config_selectorImiEEZZNS1_16scan_by_key_implILNS1_25lookback_scan_determinismE0ELb0ES3_N6thrust23THRUST_200600_302600_NS18transform_iteratorI9row_indexNS9_17counting_iteratorImNS9_11use_defaultESD_SD_EESD_SD_EENS9_6detail15normal_iteratorINS9_10device_ptrIiEEEESK_iNS9_4plusIvEENS9_8equal_toIvEEiEE10hipError_tPvRmT2_T3_T4_T5_mT6_T7_P12ihipStream_tbENKUlT_T0_E_clISt17integral_constantIbLb1EES15_EEDaS10_S11_EUlS10_E_NS1_11comp_targetILNS1_3genE10ELNS1_11target_archE1201ELNS1_3gpuE5ELNS1_3repE0EEENS1_30default_config_static_selectorELNS0_4arch9wavefront6targetE1EEEvT1_, .Lfunc_end15-_ZN7rocprim17ROCPRIM_400000_NS6detail17trampoline_kernelINS0_14default_configENS1_27scan_by_key_config_selectorImiEEZZNS1_16scan_by_key_implILNS1_25lookback_scan_determinismE0ELb0ES3_N6thrust23THRUST_200600_302600_NS18transform_iteratorI9row_indexNS9_17counting_iteratorImNS9_11use_defaultESD_SD_EESD_SD_EENS9_6detail15normal_iteratorINS9_10device_ptrIiEEEESK_iNS9_4plusIvEENS9_8equal_toIvEEiEE10hipError_tPvRmT2_T3_T4_T5_mT6_T7_P12ihipStream_tbENKUlT_T0_E_clISt17integral_constantIbLb1EES15_EEDaS10_S11_EUlS10_E_NS1_11comp_targetILNS1_3genE10ELNS1_11target_archE1201ELNS1_3gpuE5ELNS1_3repE0EEENS1_30default_config_static_selectorELNS0_4arch9wavefront6targetE1EEEvT1_
                                        ; -- End function
	.section	.AMDGPU.csdata,"",@progbits
; Kernel info:
; codeLenInByte = 0
; NumSgprs: 4
; NumVgprs: 0
; NumAgprs: 0
; TotalNumVgprs: 0
; ScratchSize: 0
; MemoryBound: 0
; FloatMode: 240
; IeeeMode: 1
; LDSByteSize: 0 bytes/workgroup (compile time only)
; SGPRBlocks: 0
; VGPRBlocks: 0
; NumSGPRsForWavesPerEU: 4
; NumVGPRsForWavesPerEU: 1
; AccumOffset: 4
; Occupancy: 8
; WaveLimiterHint : 0
; COMPUTE_PGM_RSRC2:SCRATCH_EN: 0
; COMPUTE_PGM_RSRC2:USER_SGPR: 6
; COMPUTE_PGM_RSRC2:TRAP_HANDLER: 0
; COMPUTE_PGM_RSRC2:TGID_X_EN: 1
; COMPUTE_PGM_RSRC2:TGID_Y_EN: 0
; COMPUTE_PGM_RSRC2:TGID_Z_EN: 0
; COMPUTE_PGM_RSRC2:TIDIG_COMP_CNT: 0
; COMPUTE_PGM_RSRC3_GFX90A:ACCUM_OFFSET: 0
; COMPUTE_PGM_RSRC3_GFX90A:TG_SPLIT: 0
	.section	.text._ZN7rocprim17ROCPRIM_400000_NS6detail17trampoline_kernelINS0_14default_configENS1_27scan_by_key_config_selectorImiEEZZNS1_16scan_by_key_implILNS1_25lookback_scan_determinismE0ELb0ES3_N6thrust23THRUST_200600_302600_NS18transform_iteratorI9row_indexNS9_17counting_iteratorImNS9_11use_defaultESD_SD_EESD_SD_EENS9_6detail15normal_iteratorINS9_10device_ptrIiEEEESK_iNS9_4plusIvEENS9_8equal_toIvEEiEE10hipError_tPvRmT2_T3_T4_T5_mT6_T7_P12ihipStream_tbENKUlT_T0_E_clISt17integral_constantIbLb1EES15_EEDaS10_S11_EUlS10_E_NS1_11comp_targetILNS1_3genE5ELNS1_11target_archE942ELNS1_3gpuE9ELNS1_3repE0EEENS1_30default_config_static_selectorELNS0_4arch9wavefront6targetE1EEEvT1_,"axG",@progbits,_ZN7rocprim17ROCPRIM_400000_NS6detail17trampoline_kernelINS0_14default_configENS1_27scan_by_key_config_selectorImiEEZZNS1_16scan_by_key_implILNS1_25lookback_scan_determinismE0ELb0ES3_N6thrust23THRUST_200600_302600_NS18transform_iteratorI9row_indexNS9_17counting_iteratorImNS9_11use_defaultESD_SD_EESD_SD_EENS9_6detail15normal_iteratorINS9_10device_ptrIiEEEESK_iNS9_4plusIvEENS9_8equal_toIvEEiEE10hipError_tPvRmT2_T3_T4_T5_mT6_T7_P12ihipStream_tbENKUlT_T0_E_clISt17integral_constantIbLb1EES15_EEDaS10_S11_EUlS10_E_NS1_11comp_targetILNS1_3genE5ELNS1_11target_archE942ELNS1_3gpuE9ELNS1_3repE0EEENS1_30default_config_static_selectorELNS0_4arch9wavefront6targetE1EEEvT1_,comdat
	.protected	_ZN7rocprim17ROCPRIM_400000_NS6detail17trampoline_kernelINS0_14default_configENS1_27scan_by_key_config_selectorImiEEZZNS1_16scan_by_key_implILNS1_25lookback_scan_determinismE0ELb0ES3_N6thrust23THRUST_200600_302600_NS18transform_iteratorI9row_indexNS9_17counting_iteratorImNS9_11use_defaultESD_SD_EESD_SD_EENS9_6detail15normal_iteratorINS9_10device_ptrIiEEEESK_iNS9_4plusIvEENS9_8equal_toIvEEiEE10hipError_tPvRmT2_T3_T4_T5_mT6_T7_P12ihipStream_tbENKUlT_T0_E_clISt17integral_constantIbLb1EES15_EEDaS10_S11_EUlS10_E_NS1_11comp_targetILNS1_3genE5ELNS1_11target_archE942ELNS1_3gpuE9ELNS1_3repE0EEENS1_30default_config_static_selectorELNS0_4arch9wavefront6targetE1EEEvT1_ ; -- Begin function _ZN7rocprim17ROCPRIM_400000_NS6detail17trampoline_kernelINS0_14default_configENS1_27scan_by_key_config_selectorImiEEZZNS1_16scan_by_key_implILNS1_25lookback_scan_determinismE0ELb0ES3_N6thrust23THRUST_200600_302600_NS18transform_iteratorI9row_indexNS9_17counting_iteratorImNS9_11use_defaultESD_SD_EESD_SD_EENS9_6detail15normal_iteratorINS9_10device_ptrIiEEEESK_iNS9_4plusIvEENS9_8equal_toIvEEiEE10hipError_tPvRmT2_T3_T4_T5_mT6_T7_P12ihipStream_tbENKUlT_T0_E_clISt17integral_constantIbLb1EES15_EEDaS10_S11_EUlS10_E_NS1_11comp_targetILNS1_3genE5ELNS1_11target_archE942ELNS1_3gpuE9ELNS1_3repE0EEENS1_30default_config_static_selectorELNS0_4arch9wavefront6targetE1EEEvT1_
	.globl	_ZN7rocprim17ROCPRIM_400000_NS6detail17trampoline_kernelINS0_14default_configENS1_27scan_by_key_config_selectorImiEEZZNS1_16scan_by_key_implILNS1_25lookback_scan_determinismE0ELb0ES3_N6thrust23THRUST_200600_302600_NS18transform_iteratorI9row_indexNS9_17counting_iteratorImNS9_11use_defaultESD_SD_EESD_SD_EENS9_6detail15normal_iteratorINS9_10device_ptrIiEEEESK_iNS9_4plusIvEENS9_8equal_toIvEEiEE10hipError_tPvRmT2_T3_T4_T5_mT6_T7_P12ihipStream_tbENKUlT_T0_E_clISt17integral_constantIbLb1EES15_EEDaS10_S11_EUlS10_E_NS1_11comp_targetILNS1_3genE5ELNS1_11target_archE942ELNS1_3gpuE9ELNS1_3repE0EEENS1_30default_config_static_selectorELNS0_4arch9wavefront6targetE1EEEvT1_
	.p2align	8
	.type	_ZN7rocprim17ROCPRIM_400000_NS6detail17trampoline_kernelINS0_14default_configENS1_27scan_by_key_config_selectorImiEEZZNS1_16scan_by_key_implILNS1_25lookback_scan_determinismE0ELb0ES3_N6thrust23THRUST_200600_302600_NS18transform_iteratorI9row_indexNS9_17counting_iteratorImNS9_11use_defaultESD_SD_EESD_SD_EENS9_6detail15normal_iteratorINS9_10device_ptrIiEEEESK_iNS9_4plusIvEENS9_8equal_toIvEEiEE10hipError_tPvRmT2_T3_T4_T5_mT6_T7_P12ihipStream_tbENKUlT_T0_E_clISt17integral_constantIbLb1EES15_EEDaS10_S11_EUlS10_E_NS1_11comp_targetILNS1_3genE5ELNS1_11target_archE942ELNS1_3gpuE9ELNS1_3repE0EEENS1_30default_config_static_selectorELNS0_4arch9wavefront6targetE1EEEvT1_,@function
_ZN7rocprim17ROCPRIM_400000_NS6detail17trampoline_kernelINS0_14default_configENS1_27scan_by_key_config_selectorImiEEZZNS1_16scan_by_key_implILNS1_25lookback_scan_determinismE0ELb0ES3_N6thrust23THRUST_200600_302600_NS18transform_iteratorI9row_indexNS9_17counting_iteratorImNS9_11use_defaultESD_SD_EESD_SD_EENS9_6detail15normal_iteratorINS9_10device_ptrIiEEEESK_iNS9_4plusIvEENS9_8equal_toIvEEiEE10hipError_tPvRmT2_T3_T4_T5_mT6_T7_P12ihipStream_tbENKUlT_T0_E_clISt17integral_constantIbLb1EES15_EEDaS10_S11_EUlS10_E_NS1_11comp_targetILNS1_3genE5ELNS1_11target_archE942ELNS1_3gpuE9ELNS1_3repE0EEENS1_30default_config_static_selectorELNS0_4arch9wavefront6targetE1EEEvT1_: ; @_ZN7rocprim17ROCPRIM_400000_NS6detail17trampoline_kernelINS0_14default_configENS1_27scan_by_key_config_selectorImiEEZZNS1_16scan_by_key_implILNS1_25lookback_scan_determinismE0ELb0ES3_N6thrust23THRUST_200600_302600_NS18transform_iteratorI9row_indexNS9_17counting_iteratorImNS9_11use_defaultESD_SD_EESD_SD_EENS9_6detail15normal_iteratorINS9_10device_ptrIiEEEESK_iNS9_4plusIvEENS9_8equal_toIvEEiEE10hipError_tPvRmT2_T3_T4_T5_mT6_T7_P12ihipStream_tbENKUlT_T0_E_clISt17integral_constantIbLb1EES15_EEDaS10_S11_EUlS10_E_NS1_11comp_targetILNS1_3genE5ELNS1_11target_archE942ELNS1_3gpuE9ELNS1_3repE0EEENS1_30default_config_static_selectorELNS0_4arch9wavefront6targetE1EEEvT1_
; %bb.0:
	.section	.rodata,"a",@progbits
	.p2align	6, 0x0
	.amdhsa_kernel _ZN7rocprim17ROCPRIM_400000_NS6detail17trampoline_kernelINS0_14default_configENS1_27scan_by_key_config_selectorImiEEZZNS1_16scan_by_key_implILNS1_25lookback_scan_determinismE0ELb0ES3_N6thrust23THRUST_200600_302600_NS18transform_iteratorI9row_indexNS9_17counting_iteratorImNS9_11use_defaultESD_SD_EESD_SD_EENS9_6detail15normal_iteratorINS9_10device_ptrIiEEEESK_iNS9_4plusIvEENS9_8equal_toIvEEiEE10hipError_tPvRmT2_T3_T4_T5_mT6_T7_P12ihipStream_tbENKUlT_T0_E_clISt17integral_constantIbLb1EES15_EEDaS10_S11_EUlS10_E_NS1_11comp_targetILNS1_3genE5ELNS1_11target_archE942ELNS1_3gpuE9ELNS1_3repE0EEENS1_30default_config_static_selectorELNS0_4arch9wavefront6targetE1EEEvT1_
		.amdhsa_group_segment_fixed_size 0
		.amdhsa_private_segment_fixed_size 0
		.amdhsa_kernarg_size 120
		.amdhsa_user_sgpr_count 6
		.amdhsa_user_sgpr_private_segment_buffer 1
		.amdhsa_user_sgpr_dispatch_ptr 0
		.amdhsa_user_sgpr_queue_ptr 0
		.amdhsa_user_sgpr_kernarg_segment_ptr 1
		.amdhsa_user_sgpr_dispatch_id 0
		.amdhsa_user_sgpr_flat_scratch_init 0
		.amdhsa_user_sgpr_kernarg_preload_length 0
		.amdhsa_user_sgpr_kernarg_preload_offset 0
		.amdhsa_user_sgpr_private_segment_size 0
		.amdhsa_uses_dynamic_stack 0
		.amdhsa_system_sgpr_private_segment_wavefront_offset 0
		.amdhsa_system_sgpr_workgroup_id_x 1
		.amdhsa_system_sgpr_workgroup_id_y 0
		.amdhsa_system_sgpr_workgroup_id_z 0
		.amdhsa_system_sgpr_workgroup_info 0
		.amdhsa_system_vgpr_workitem_id 0
		.amdhsa_next_free_vgpr 1
		.amdhsa_next_free_sgpr 0
		.amdhsa_accum_offset 4
		.amdhsa_reserve_vcc 0
		.amdhsa_reserve_flat_scratch 0
		.amdhsa_float_round_mode_32 0
		.amdhsa_float_round_mode_16_64 0
		.amdhsa_float_denorm_mode_32 3
		.amdhsa_float_denorm_mode_16_64 3
		.amdhsa_dx10_clamp 1
		.amdhsa_ieee_mode 1
		.amdhsa_fp16_overflow 0
		.amdhsa_tg_split 0
		.amdhsa_exception_fp_ieee_invalid_op 0
		.amdhsa_exception_fp_denorm_src 0
		.amdhsa_exception_fp_ieee_div_zero 0
		.amdhsa_exception_fp_ieee_overflow 0
		.amdhsa_exception_fp_ieee_underflow 0
		.amdhsa_exception_fp_ieee_inexact 0
		.amdhsa_exception_int_div_zero 0
	.end_amdhsa_kernel
	.section	.text._ZN7rocprim17ROCPRIM_400000_NS6detail17trampoline_kernelINS0_14default_configENS1_27scan_by_key_config_selectorImiEEZZNS1_16scan_by_key_implILNS1_25lookback_scan_determinismE0ELb0ES3_N6thrust23THRUST_200600_302600_NS18transform_iteratorI9row_indexNS9_17counting_iteratorImNS9_11use_defaultESD_SD_EESD_SD_EENS9_6detail15normal_iteratorINS9_10device_ptrIiEEEESK_iNS9_4plusIvEENS9_8equal_toIvEEiEE10hipError_tPvRmT2_T3_T4_T5_mT6_T7_P12ihipStream_tbENKUlT_T0_E_clISt17integral_constantIbLb1EES15_EEDaS10_S11_EUlS10_E_NS1_11comp_targetILNS1_3genE5ELNS1_11target_archE942ELNS1_3gpuE9ELNS1_3repE0EEENS1_30default_config_static_selectorELNS0_4arch9wavefront6targetE1EEEvT1_,"axG",@progbits,_ZN7rocprim17ROCPRIM_400000_NS6detail17trampoline_kernelINS0_14default_configENS1_27scan_by_key_config_selectorImiEEZZNS1_16scan_by_key_implILNS1_25lookback_scan_determinismE0ELb0ES3_N6thrust23THRUST_200600_302600_NS18transform_iteratorI9row_indexNS9_17counting_iteratorImNS9_11use_defaultESD_SD_EESD_SD_EENS9_6detail15normal_iteratorINS9_10device_ptrIiEEEESK_iNS9_4plusIvEENS9_8equal_toIvEEiEE10hipError_tPvRmT2_T3_T4_T5_mT6_T7_P12ihipStream_tbENKUlT_T0_E_clISt17integral_constantIbLb1EES15_EEDaS10_S11_EUlS10_E_NS1_11comp_targetILNS1_3genE5ELNS1_11target_archE942ELNS1_3gpuE9ELNS1_3repE0EEENS1_30default_config_static_selectorELNS0_4arch9wavefront6targetE1EEEvT1_,comdat
.Lfunc_end16:
	.size	_ZN7rocprim17ROCPRIM_400000_NS6detail17trampoline_kernelINS0_14default_configENS1_27scan_by_key_config_selectorImiEEZZNS1_16scan_by_key_implILNS1_25lookback_scan_determinismE0ELb0ES3_N6thrust23THRUST_200600_302600_NS18transform_iteratorI9row_indexNS9_17counting_iteratorImNS9_11use_defaultESD_SD_EESD_SD_EENS9_6detail15normal_iteratorINS9_10device_ptrIiEEEESK_iNS9_4plusIvEENS9_8equal_toIvEEiEE10hipError_tPvRmT2_T3_T4_T5_mT6_T7_P12ihipStream_tbENKUlT_T0_E_clISt17integral_constantIbLb1EES15_EEDaS10_S11_EUlS10_E_NS1_11comp_targetILNS1_3genE5ELNS1_11target_archE942ELNS1_3gpuE9ELNS1_3repE0EEENS1_30default_config_static_selectorELNS0_4arch9wavefront6targetE1EEEvT1_, .Lfunc_end16-_ZN7rocprim17ROCPRIM_400000_NS6detail17trampoline_kernelINS0_14default_configENS1_27scan_by_key_config_selectorImiEEZZNS1_16scan_by_key_implILNS1_25lookback_scan_determinismE0ELb0ES3_N6thrust23THRUST_200600_302600_NS18transform_iteratorI9row_indexNS9_17counting_iteratorImNS9_11use_defaultESD_SD_EESD_SD_EENS9_6detail15normal_iteratorINS9_10device_ptrIiEEEESK_iNS9_4plusIvEENS9_8equal_toIvEEiEE10hipError_tPvRmT2_T3_T4_T5_mT6_T7_P12ihipStream_tbENKUlT_T0_E_clISt17integral_constantIbLb1EES15_EEDaS10_S11_EUlS10_E_NS1_11comp_targetILNS1_3genE5ELNS1_11target_archE942ELNS1_3gpuE9ELNS1_3repE0EEENS1_30default_config_static_selectorELNS0_4arch9wavefront6targetE1EEEvT1_
                                        ; -- End function
	.section	.AMDGPU.csdata,"",@progbits
; Kernel info:
; codeLenInByte = 0
; NumSgprs: 4
; NumVgprs: 0
; NumAgprs: 0
; TotalNumVgprs: 0
; ScratchSize: 0
; MemoryBound: 0
; FloatMode: 240
; IeeeMode: 1
; LDSByteSize: 0 bytes/workgroup (compile time only)
; SGPRBlocks: 0
; VGPRBlocks: 0
; NumSGPRsForWavesPerEU: 4
; NumVGPRsForWavesPerEU: 1
; AccumOffset: 4
; Occupancy: 8
; WaveLimiterHint : 0
; COMPUTE_PGM_RSRC2:SCRATCH_EN: 0
; COMPUTE_PGM_RSRC2:USER_SGPR: 6
; COMPUTE_PGM_RSRC2:TRAP_HANDLER: 0
; COMPUTE_PGM_RSRC2:TGID_X_EN: 1
; COMPUTE_PGM_RSRC2:TGID_Y_EN: 0
; COMPUTE_PGM_RSRC2:TGID_Z_EN: 0
; COMPUTE_PGM_RSRC2:TIDIG_COMP_CNT: 0
; COMPUTE_PGM_RSRC3_GFX90A:ACCUM_OFFSET: 0
; COMPUTE_PGM_RSRC3_GFX90A:TG_SPLIT: 0
	.section	.text._ZN7rocprim17ROCPRIM_400000_NS6detail17trampoline_kernelINS0_14default_configENS1_27scan_by_key_config_selectorImiEEZZNS1_16scan_by_key_implILNS1_25lookback_scan_determinismE0ELb0ES3_N6thrust23THRUST_200600_302600_NS18transform_iteratorI9row_indexNS9_17counting_iteratorImNS9_11use_defaultESD_SD_EESD_SD_EENS9_6detail15normal_iteratorINS9_10device_ptrIiEEEESK_iNS9_4plusIvEENS9_8equal_toIvEEiEE10hipError_tPvRmT2_T3_T4_T5_mT6_T7_P12ihipStream_tbENKUlT_T0_E_clISt17integral_constantIbLb1EES15_EEDaS10_S11_EUlS10_E_NS1_11comp_targetILNS1_3genE4ELNS1_11target_archE910ELNS1_3gpuE8ELNS1_3repE0EEENS1_30default_config_static_selectorELNS0_4arch9wavefront6targetE1EEEvT1_,"axG",@progbits,_ZN7rocprim17ROCPRIM_400000_NS6detail17trampoline_kernelINS0_14default_configENS1_27scan_by_key_config_selectorImiEEZZNS1_16scan_by_key_implILNS1_25lookback_scan_determinismE0ELb0ES3_N6thrust23THRUST_200600_302600_NS18transform_iteratorI9row_indexNS9_17counting_iteratorImNS9_11use_defaultESD_SD_EESD_SD_EENS9_6detail15normal_iteratorINS9_10device_ptrIiEEEESK_iNS9_4plusIvEENS9_8equal_toIvEEiEE10hipError_tPvRmT2_T3_T4_T5_mT6_T7_P12ihipStream_tbENKUlT_T0_E_clISt17integral_constantIbLb1EES15_EEDaS10_S11_EUlS10_E_NS1_11comp_targetILNS1_3genE4ELNS1_11target_archE910ELNS1_3gpuE8ELNS1_3repE0EEENS1_30default_config_static_selectorELNS0_4arch9wavefront6targetE1EEEvT1_,comdat
	.protected	_ZN7rocprim17ROCPRIM_400000_NS6detail17trampoline_kernelINS0_14default_configENS1_27scan_by_key_config_selectorImiEEZZNS1_16scan_by_key_implILNS1_25lookback_scan_determinismE0ELb0ES3_N6thrust23THRUST_200600_302600_NS18transform_iteratorI9row_indexNS9_17counting_iteratorImNS9_11use_defaultESD_SD_EESD_SD_EENS9_6detail15normal_iteratorINS9_10device_ptrIiEEEESK_iNS9_4plusIvEENS9_8equal_toIvEEiEE10hipError_tPvRmT2_T3_T4_T5_mT6_T7_P12ihipStream_tbENKUlT_T0_E_clISt17integral_constantIbLb1EES15_EEDaS10_S11_EUlS10_E_NS1_11comp_targetILNS1_3genE4ELNS1_11target_archE910ELNS1_3gpuE8ELNS1_3repE0EEENS1_30default_config_static_selectorELNS0_4arch9wavefront6targetE1EEEvT1_ ; -- Begin function _ZN7rocprim17ROCPRIM_400000_NS6detail17trampoline_kernelINS0_14default_configENS1_27scan_by_key_config_selectorImiEEZZNS1_16scan_by_key_implILNS1_25lookback_scan_determinismE0ELb0ES3_N6thrust23THRUST_200600_302600_NS18transform_iteratorI9row_indexNS9_17counting_iteratorImNS9_11use_defaultESD_SD_EESD_SD_EENS9_6detail15normal_iteratorINS9_10device_ptrIiEEEESK_iNS9_4plusIvEENS9_8equal_toIvEEiEE10hipError_tPvRmT2_T3_T4_T5_mT6_T7_P12ihipStream_tbENKUlT_T0_E_clISt17integral_constantIbLb1EES15_EEDaS10_S11_EUlS10_E_NS1_11comp_targetILNS1_3genE4ELNS1_11target_archE910ELNS1_3gpuE8ELNS1_3repE0EEENS1_30default_config_static_selectorELNS0_4arch9wavefront6targetE1EEEvT1_
	.globl	_ZN7rocprim17ROCPRIM_400000_NS6detail17trampoline_kernelINS0_14default_configENS1_27scan_by_key_config_selectorImiEEZZNS1_16scan_by_key_implILNS1_25lookback_scan_determinismE0ELb0ES3_N6thrust23THRUST_200600_302600_NS18transform_iteratorI9row_indexNS9_17counting_iteratorImNS9_11use_defaultESD_SD_EESD_SD_EENS9_6detail15normal_iteratorINS9_10device_ptrIiEEEESK_iNS9_4plusIvEENS9_8equal_toIvEEiEE10hipError_tPvRmT2_T3_T4_T5_mT6_T7_P12ihipStream_tbENKUlT_T0_E_clISt17integral_constantIbLb1EES15_EEDaS10_S11_EUlS10_E_NS1_11comp_targetILNS1_3genE4ELNS1_11target_archE910ELNS1_3gpuE8ELNS1_3repE0EEENS1_30default_config_static_selectorELNS0_4arch9wavefront6targetE1EEEvT1_
	.p2align	8
	.type	_ZN7rocprim17ROCPRIM_400000_NS6detail17trampoline_kernelINS0_14default_configENS1_27scan_by_key_config_selectorImiEEZZNS1_16scan_by_key_implILNS1_25lookback_scan_determinismE0ELb0ES3_N6thrust23THRUST_200600_302600_NS18transform_iteratorI9row_indexNS9_17counting_iteratorImNS9_11use_defaultESD_SD_EESD_SD_EENS9_6detail15normal_iteratorINS9_10device_ptrIiEEEESK_iNS9_4plusIvEENS9_8equal_toIvEEiEE10hipError_tPvRmT2_T3_T4_T5_mT6_T7_P12ihipStream_tbENKUlT_T0_E_clISt17integral_constantIbLb1EES15_EEDaS10_S11_EUlS10_E_NS1_11comp_targetILNS1_3genE4ELNS1_11target_archE910ELNS1_3gpuE8ELNS1_3repE0EEENS1_30default_config_static_selectorELNS0_4arch9wavefront6targetE1EEEvT1_,@function
_ZN7rocprim17ROCPRIM_400000_NS6detail17trampoline_kernelINS0_14default_configENS1_27scan_by_key_config_selectorImiEEZZNS1_16scan_by_key_implILNS1_25lookback_scan_determinismE0ELb0ES3_N6thrust23THRUST_200600_302600_NS18transform_iteratorI9row_indexNS9_17counting_iteratorImNS9_11use_defaultESD_SD_EESD_SD_EENS9_6detail15normal_iteratorINS9_10device_ptrIiEEEESK_iNS9_4plusIvEENS9_8equal_toIvEEiEE10hipError_tPvRmT2_T3_T4_T5_mT6_T7_P12ihipStream_tbENKUlT_T0_E_clISt17integral_constantIbLb1EES15_EEDaS10_S11_EUlS10_E_NS1_11comp_targetILNS1_3genE4ELNS1_11target_archE910ELNS1_3gpuE8ELNS1_3repE0EEENS1_30default_config_static_selectorELNS0_4arch9wavefront6targetE1EEEvT1_: ; @_ZN7rocprim17ROCPRIM_400000_NS6detail17trampoline_kernelINS0_14default_configENS1_27scan_by_key_config_selectorImiEEZZNS1_16scan_by_key_implILNS1_25lookback_scan_determinismE0ELb0ES3_N6thrust23THRUST_200600_302600_NS18transform_iteratorI9row_indexNS9_17counting_iteratorImNS9_11use_defaultESD_SD_EESD_SD_EENS9_6detail15normal_iteratorINS9_10device_ptrIiEEEESK_iNS9_4plusIvEENS9_8equal_toIvEEiEE10hipError_tPvRmT2_T3_T4_T5_mT6_T7_P12ihipStream_tbENKUlT_T0_E_clISt17integral_constantIbLb1EES15_EEDaS10_S11_EUlS10_E_NS1_11comp_targetILNS1_3genE4ELNS1_11target_archE910ELNS1_3gpuE8ELNS1_3repE0EEENS1_30default_config_static_selectorELNS0_4arch9wavefront6targetE1EEEvT1_
; %bb.0:
	s_load_dwordx8 s[48:55], s[4:5], 0x0
	s_load_dwordx2 s[38:39], s[4:5], 0x20
	s_load_dwordx4 s[56:59], s[4:5], 0x30
	s_load_dwordx2 s[60:61], s[4:5], 0x40
	s_load_dwordx2 s[6:7], s[4:5], 0x70
	s_load_dwordx8 s[40:47], s[4:5], 0x50
	v_cmp_ne_u32_e64 s[36:37], 0, v0
	v_cmp_eq_u32_e64 s[0:1], 0, v0
	s_and_saveexec_b64 s[2:3], s[0:1]
	s_cbranch_execz .LBB17_4
; %bb.1:
	s_mov_b64 s[10:11], exec
	v_mbcnt_lo_u32_b32 v1, s10, 0
	v_mbcnt_hi_u32_b32 v1, s11, v1
	v_cmp_eq_u32_e32 vcc, 0, v1
                                        ; implicit-def: $vgpr2
	s_and_saveexec_b64 s[8:9], vcc
	s_cbranch_execz .LBB17_3
; %bb.2:
	s_bcnt1_i32_b64 s10, s[10:11]
	v_mov_b32_e32 v2, 0
	v_mov_b32_e32 v3, s10
	s_waitcnt lgkmcnt(0)
	global_atomic_add v2, v2, v3, s[6:7] glc
.LBB17_3:
	s_or_b64 exec, exec, s[8:9]
	s_waitcnt vmcnt(0) lgkmcnt(0)
	v_readfirstlane_b32 s6, v2
	v_add_u32_e32 v1, s6, v1
	v_mov_b32_e32 v2, 0
	ds_write_b32 v2, v1
.LBB17_4:
	s_or_b64 exec, exec, s[2:3]
	s_load_dword s2, s[4:5], 0x48
	v_mov_b32_e32 v1, 0
	s_waitcnt lgkmcnt(0)
	s_barrier
	ds_read_b32 v1, v1
	s_add_u32 s3, s52, s48
	s_addc_u32 s6, s53, s49
	s_lshl_b64 s[48:49], s[52:53], 2
	s_add_u32 s7, s54, s48
	s_mul_i32 s4, s61, s2
	s_mul_hi_u32 s5, s60, s2
	s_addc_u32 s8, s55, s49
	s_add_i32 s9, s5, s4
	s_waitcnt lgkmcnt(0)
	v_readfirstlane_b32 s59, v1
	s_cmp_lg_u64 s[44:45], 0
	s_mul_i32 s4, s59, 0xe00
	s_cselect_b64 s[54:55], -1, 0
	s_mov_b32 s5, 0
	s_add_u32 s52, s3, s4
	s_addc_u32 s53, s6, 0
	s_lshl_b64 s[44:45], s[4:5], 2
	s_add_u32 s66, s7, s44
	s_mul_i32 s2, s60, s2
	s_addc_u32 s67, s8, s45
	s_add_u32 s62, s2, s59
	s_addc_u32 s63, s9, 0
	s_add_u32 s6, s40, -1
	s_addc_u32 s7, s41, -1
	v_pk_mov_b32 v[2:3], s[6:7], s[6:7] op_sel:[0,1]
	v_cmp_ge_u64_e64 s[2:3], s[62:63], v[2:3]
	s_mov_b64 s[18:19], 0
	s_mov_b64 s[12:13], -1
	s_and_b64 vcc, exec, s[2:3]
	s_mul_i32 s33, s6, 0xfffff200
	s_barrier
	s_barrier
	s_cbranch_vccz .LBB17_95
; %bb.5:
	s_or_b64 s[6:7], s[52:53], s[50:51]
	s_mov_b32 s6, s5
	s_cmp_lg_u64 s[6:7], 0
	s_cbranch_scc0 .LBB17_96
; %bb.6:
	v_cvt_f32_u32_e32 v1, s50
	v_cvt_f32_u32_e32 v2, s51
	s_sub_u32 s4, 0, s50
	s_subb_u32 s5, 0, s51
	v_madmk_f32 v1, v2, 0x4f800000, v1
	v_rcp_f32_e32 v1, v1
	v_mul_f32_e32 v1, 0x5f7ffffc, v1
	v_mul_f32_e32 v2, 0x2f800000, v1
	v_trunc_f32_e32 v2, v2
	v_madmk_f32 v1, v2, 0xcf800000, v1
	v_cvt_u32_f32_e32 v2, v2
	v_cvt_u32_f32_e32 v1, v1
	v_readfirstlane_b32 s8, v2
	v_readfirstlane_b32 s9, v1
	s_mul_i32 s10, s4, s8
	s_mul_hi_u32 s12, s4, s9
	s_mul_i32 s11, s5, s9
	s_add_i32 s10, s12, s10
	s_add_i32 s10, s10, s11
	s_mul_i32 s13, s4, s9
	s_mul_hi_u32 s11, s9, s10
	s_mul_i32 s12, s9, s10
	s_mul_hi_u32 s9, s9, s13
	s_add_u32 s9, s9, s12
	s_addc_u32 s11, 0, s11
	s_mul_hi_u32 s14, s8, s13
	s_mul_i32 s13, s8, s13
	s_add_u32 s9, s9, s13
	s_mul_hi_u32 s12, s8, s10
	s_addc_u32 s9, s11, s14
	s_addc_u32 s11, s12, 0
	s_mul_i32 s10, s8, s10
	s_add_u32 s9, s9, s10
	s_addc_u32 s10, 0, s11
	v_add_co_u32_e32 v1, vcc, s9, v1
	s_cmp_lg_u64 vcc, 0
	s_addc_u32 s8, s8, s10
	v_readfirstlane_b32 s10, v1
	s_mul_i32 s9, s4, s8
	s_mul_hi_u32 s11, s4, s10
	s_add_i32 s9, s11, s9
	s_mul_i32 s5, s5, s10
	s_add_i32 s9, s9, s5
	s_mul_i32 s4, s4, s10
	s_mul_hi_u32 s11, s8, s4
	s_mul_i32 s12, s8, s4
	s_mul_i32 s14, s10, s9
	s_mul_hi_u32 s4, s10, s4
	s_mul_hi_u32 s13, s10, s9
	s_add_u32 s4, s4, s14
	s_addc_u32 s10, 0, s13
	s_add_u32 s4, s4, s12
	s_mul_hi_u32 s5, s8, s9
	s_addc_u32 s4, s10, s11
	s_addc_u32 s5, s5, 0
	s_mul_i32 s9, s8, s9
	s_add_u32 s4, s4, s9
	s_addc_u32 s5, 0, s5
	v_add_co_u32_e32 v1, vcc, s4, v1
	s_cmp_lg_u64 vcc, 0
	s_addc_u32 s4, s8, s5
	v_readfirstlane_b32 s9, v1
	s_mul_i32 s8, s52, s4
	s_mul_hi_u32 s10, s52, s9
	s_mul_hi_u32 s5, s52, s4
	s_add_u32 s8, s10, s8
	s_addc_u32 s5, 0, s5
	s_mul_hi_u32 s11, s53, s9
	s_mul_i32 s9, s53, s9
	s_add_u32 s8, s8, s9
	s_mul_hi_u32 s10, s53, s4
	s_addc_u32 s5, s5, s11
	s_addc_u32 s8, s10, 0
	s_mul_i32 s4, s53, s4
	s_add_u32 s9, s5, s4
	s_addc_u32 s8, 0, s8
	s_mul_i32 s4, s50, s8
	s_mul_hi_u32 s5, s50, s9
	s_add_i32 s4, s5, s4
	s_mul_i32 s5, s51, s9
	s_add_i32 s10, s4, s5
	s_mul_i32 s5, s50, s9
	v_mov_b32_e32 v1, s5
	s_sub_i32 s4, s53, s10
	v_sub_co_u32_e32 v1, vcc, s52, v1
	s_cmp_lg_u64 vcc, 0
	s_subb_u32 s11, s4, s51
	v_subrev_co_u32_e64 v2, s[4:5], s50, v1
	s_cmp_lg_u64 s[4:5], 0
	s_subb_u32 s11, s11, 0
	s_cmp_ge_u32 s11, s51
	s_cselect_b32 s12, -1, 0
	v_cmp_le_u32_e64 s[4:5], s50, v2
	s_cmp_eq_u32 s11, s51
	v_cndmask_b32_e64 v2, 0, -1, s[4:5]
	v_mov_b32_e32 v3, s12
	s_cselect_b64 s[4:5], -1, 0
	v_cndmask_b32_e64 v2, v3, v2, s[4:5]
	s_add_u32 s4, s9, 1
	s_addc_u32 s11, s8, 0
	s_add_u32 s5, s9, 2
	s_addc_u32 s12, s8, 0
	v_mov_b32_e32 v3, s4
	v_mov_b32_e32 v4, s5
	v_cmp_ne_u32_e64 s[4:5], 0, v2
	v_cndmask_b32_e64 v2, v3, v4, s[4:5]
	v_mov_b32_e32 v3, s11
	v_mov_b32_e32 v4, s12
	s_cmp_lg_u64 vcc, 0
	v_cndmask_b32_e64 v3, v3, v4, s[4:5]
	s_subb_u32 s4, s53, s10
	s_cmp_ge_u32 s4, s51
	s_cselect_b32 s5, -1, 0
	v_cmp_le_u32_e32 vcc, s50, v1
	s_cmp_eq_u32 s4, s51
	v_cndmask_b32_e64 v1, 0, -1, vcc
	v_mov_b32_e32 v4, s5
	s_cselect_b64 vcc, -1, 0
	v_cndmask_b32_e32 v1, v4, v1, vcc
	v_mov_b32_e32 v4, s8
	v_cmp_ne_u32_e32 vcc, 0, v1
	v_mov_b32_e32 v1, s9
	v_cndmask_b32_e32 v55, v4, v3, vcc
	v_cndmask_b32_e32 v54, v1, v2, vcc
	s_cbranch_execnz .LBB17_8
.LBB17_7:
	v_cvt_f32_u32_e32 v1, s50
	s_sub_i32 s4, 0, s50
	s_mov_b32 s5, 0
	v_rcp_iflag_f32_e32 v1, v1
	v_mul_f32_e32 v1, 0x4f7ffffe, v1
	v_cvt_u32_f32_e32 v1, v1
	v_readfirstlane_b32 s6, v1
	s_mul_i32 s4, s4, s6
	s_mul_hi_u32 s4, s6, s4
	s_add_i32 s6, s6, s4
	s_mul_hi_u32 s4, s52, s6
	s_mul_i32 s7, s4, s50
	s_sub_i32 s7, s52, s7
	s_add_i32 s6, s4, 1
	s_sub_i32 s8, s7, s50
	s_cmp_ge_u32 s7, s50
	s_cselect_b32 s4, s6, s4
	s_cselect_b32 s7, s8, s7
	s_add_i32 s6, s4, 1
	s_cmp_ge_u32 s7, s50
	s_cselect_b32 s4, s6, s4
	v_pk_mov_b32 v[54:55], s[4:5], s[4:5] op_sel:[0,1]
.LBB17_8:
	s_add_i32 s68, s33, s58
	v_cmp_gt_u32_e64 s[6:7], s68, v0
	v_pk_mov_b32 v[2:3], v[54:55], v[54:55] op_sel:[0,1]
	s_and_saveexec_b64 s[8:9], s[6:7]
	s_cbranch_execz .LBB17_14
; %bb.9:
	v_mov_b32_e32 v3, s53
	v_add_co_u32_e32 v1, vcc, s52, v0
	v_addc_co_u32_e32 v4, vcc, 0, v3, vcc
	v_mov_b32_e32 v2, 0
	v_or_b32_e32 v3, s51, v4
	v_cmp_ne_u64_e32 vcc, 0, v[2:3]
                                        ; implicit-def: $vgpr2_vgpr3
	s_and_saveexec_b64 s[4:5], vcc
	s_xor_b64 s[10:11], exec, s[4:5]
	s_cbranch_execz .LBB17_11
; %bb.10:
	v_cvt_f32_u32_e32 v2, s50
	v_cvt_f32_u32_e32 v3, s51
	s_sub_u32 s4, 0, s50
	s_subb_u32 s5, 0, s51
	v_madmk_f32 v2, v3, 0x4f800000, v2
	v_rcp_f32_e32 v2, v2
	v_mul_f32_e32 v2, 0x5f7ffffc, v2
	v_mul_f32_e32 v3, 0x2f800000, v2
	v_trunc_f32_e32 v3, v3
	v_madmk_f32 v2, v3, 0xcf800000, v2
	v_cvt_u32_f32_e32 v3, v3
	v_cvt_u32_f32_e32 v2, v2
	v_mul_lo_u32 v5, s4, v3
	v_mul_hi_u32 v7, s4, v2
	v_mul_lo_u32 v6, s5, v2
	v_add_u32_e32 v5, v7, v5
	v_mul_lo_u32 v8, s4, v2
	v_add_u32_e32 v5, v5, v6
	v_mul_hi_u32 v7, v2, v8
	v_mul_lo_u32 v9, v2, v5
	v_mul_hi_u32 v6, v2, v5
	v_add_co_u32_e32 v7, vcc, v7, v9
	v_addc_co_u32_e32 v6, vcc, 0, v6, vcc
	v_mul_hi_u32 v10, v3, v8
	v_mul_lo_u32 v8, v3, v8
	v_add_co_u32_e32 v7, vcc, v7, v8
	v_mul_hi_u32 v9, v3, v5
	v_addc_co_u32_e32 v6, vcc, v6, v10, vcc
	v_addc_co_u32_e32 v7, vcc, 0, v9, vcc
	v_mul_lo_u32 v5, v3, v5
	v_add_co_u32_e32 v5, vcc, v6, v5
	v_addc_co_u32_e32 v6, vcc, 0, v7, vcc
	v_add_co_u32_e32 v2, vcc, v2, v5
	v_addc_co_u32_e32 v3, vcc, v3, v6, vcc
	v_mul_lo_u32 v5, s4, v3
	v_mul_hi_u32 v6, s4, v2
	v_add_u32_e32 v5, v6, v5
	v_mul_lo_u32 v6, s5, v2
	v_add_u32_e32 v5, v5, v6
	v_mul_lo_u32 v7, s4, v2
	v_mul_hi_u32 v8, v3, v7
	v_mul_lo_u32 v9, v3, v7
	v_mul_lo_u32 v11, v2, v5
	v_mul_hi_u32 v7, v2, v7
	v_mul_hi_u32 v10, v2, v5
	v_add_co_u32_e32 v7, vcc, v7, v11
	v_addc_co_u32_e32 v10, vcc, 0, v10, vcc
	v_add_co_u32_e32 v7, vcc, v7, v9
	v_mul_hi_u32 v6, v3, v5
	v_addc_co_u32_e32 v7, vcc, v10, v8, vcc
	v_addc_co_u32_e32 v6, vcc, 0, v6, vcc
	v_mul_lo_u32 v5, v3, v5
	v_add_co_u32_e32 v5, vcc, v7, v5
	v_addc_co_u32_e32 v6, vcc, 0, v6, vcc
	v_add_co_u32_e32 v5, vcc, v2, v5
	v_addc_co_u32_e32 v6, vcc, v3, v6, vcc
	v_mad_u64_u32 v[2:3], s[4:5], v1, v6, 0
	v_mul_hi_u32 v7, v1, v5
	v_add_co_u32_e32 v8, vcc, v7, v2
	v_addc_co_u32_e32 v9, vcc, 0, v3, vcc
	v_mad_u64_u32 v[2:3], s[4:5], v4, v6, 0
	v_mad_u64_u32 v[6:7], s[4:5], v4, v5, 0
	v_add_co_u32_e32 v5, vcc, v8, v6
	v_addc_co_u32_e32 v5, vcc, v9, v7, vcc
	v_addc_co_u32_e32 v3, vcc, 0, v3, vcc
	v_add_co_u32_e32 v5, vcc, v5, v2
	v_addc_co_u32_e32 v6, vcc, 0, v3, vcc
	v_mul_lo_u32 v7, s51, v5
	v_mul_lo_u32 v8, s50, v6
	v_mad_u64_u32 v[2:3], s[4:5], s50, v5, 0
	v_add3_u32 v3, v3, v8, v7
	v_sub_u32_e32 v7, v4, v3
	v_mov_b32_e32 v8, s51
	v_sub_co_u32_e32 v1, vcc, v1, v2
	v_subb_co_u32_e64 v2, s[4:5], v7, v8, vcc
	v_subrev_co_u32_e64 v7, s[4:5], s50, v1
	v_subbrev_co_u32_e64 v2, s[4:5], 0, v2, s[4:5]
	v_cmp_le_u32_e64 s[4:5], s51, v2
	v_cndmask_b32_e64 v8, 0, -1, s[4:5]
	v_cmp_le_u32_e64 s[4:5], s50, v7
	v_cndmask_b32_e64 v7, 0, -1, s[4:5]
	v_cmp_eq_u32_e64 s[4:5], s51, v2
	v_cndmask_b32_e64 v2, v8, v7, s[4:5]
	v_add_co_u32_e64 v7, s[4:5], 2, v5
	v_subb_co_u32_e32 v3, vcc, v4, v3, vcc
	v_addc_co_u32_e64 v8, s[4:5], 0, v6, s[4:5]
	v_cmp_le_u32_e32 vcc, s51, v3
	v_add_co_u32_e64 v9, s[4:5], 1, v5
	v_cndmask_b32_e64 v4, 0, -1, vcc
	v_cmp_le_u32_e32 vcc, s50, v1
	v_addc_co_u32_e64 v10, s[4:5], 0, v6, s[4:5]
	v_cndmask_b32_e64 v1, 0, -1, vcc
	v_cmp_eq_u32_e32 vcc, s51, v3
	v_cmp_ne_u32_e64 s[4:5], 0, v2
	v_cndmask_b32_e32 v1, v4, v1, vcc
	v_cndmask_b32_e64 v2, v10, v8, s[4:5]
	v_cmp_ne_u32_e32 vcc, 0, v1
	v_cndmask_b32_e64 v1, v9, v7, s[4:5]
	v_cndmask_b32_e32 v3, v6, v2, vcc
	v_cndmask_b32_e32 v2, v5, v1, vcc
                                        ; implicit-def: $vgpr1
.LBB17_11:
	s_andn2_saveexec_b64 s[4:5], s[10:11]
	s_cbranch_execz .LBB17_13
; %bb.12:
	v_cvt_f32_u32_e32 v2, s50
	s_sub_i32 s10, 0, s50
	v_rcp_iflag_f32_e32 v2, v2
	v_mul_f32_e32 v2, 0x4f7ffffe, v2
	v_cvt_u32_f32_e32 v2, v2
	v_mul_lo_u32 v3, s10, v2
	v_mul_hi_u32 v3, v2, v3
	v_add_u32_e32 v2, v2, v3
	v_mul_hi_u32 v2, v1, v2
	v_mul_lo_u32 v3, v2, s50
	v_sub_u32_e32 v1, v1, v3
	v_add_u32_e32 v4, 1, v2
	v_subrev_u32_e32 v3, s50, v1
	v_cmp_le_u32_e32 vcc, s50, v1
	v_cndmask_b32_e32 v1, v1, v3, vcc
	v_cndmask_b32_e32 v2, v2, v4, vcc
	v_add_u32_e32 v3, 1, v2
	v_cmp_le_u32_e32 vcc, s50, v1
	v_cndmask_b32_e32 v2, v2, v3, vcc
	v_mov_b32_e32 v3, 0
.LBB17_13:
	s_or_b64 exec, exec, s[4:5]
.LBB17_14:
	s_or_b64 exec, exec, s[8:9]
	v_or_b32_e32 v1, 0x100, v0
	v_cmp_gt_u32_e64 s[8:9], s68, v1
	v_pk_mov_b32 v[4:5], v[54:55], v[54:55] op_sel:[0,1]
	s_and_saveexec_b64 s[10:11], s[8:9]
	s_cbranch_execz .LBB17_20
; %bb.15:
	v_mov_b32_e32 v5, s53
	v_add_co_u32_e32 v1, vcc, s52, v1
	v_addc_co_u32_e32 v6, vcc, 0, v5, vcc
	v_mov_b32_e32 v4, 0
	v_or_b32_e32 v5, s51, v6
	v_cmp_ne_u64_e32 vcc, 0, v[4:5]
                                        ; implicit-def: $vgpr4_vgpr5
	s_and_saveexec_b64 s[4:5], vcc
	s_xor_b64 s[12:13], exec, s[4:5]
	s_cbranch_execz .LBB17_17
; %bb.16:
	v_cvt_f32_u32_e32 v4, s50
	v_cvt_f32_u32_e32 v5, s51
	s_sub_u32 s4, 0, s50
	s_subb_u32 s5, 0, s51
	v_madmk_f32 v4, v5, 0x4f800000, v4
	v_rcp_f32_e32 v4, v4
	v_mul_f32_e32 v4, 0x5f7ffffc, v4
	v_mul_f32_e32 v5, 0x2f800000, v4
	v_trunc_f32_e32 v5, v5
	v_madmk_f32 v4, v5, 0xcf800000, v4
	v_cvt_u32_f32_e32 v5, v5
	v_cvt_u32_f32_e32 v4, v4
	v_mul_lo_u32 v7, s4, v5
	v_mul_hi_u32 v9, s4, v4
	v_mul_lo_u32 v8, s5, v4
	v_add_u32_e32 v7, v9, v7
	v_mul_lo_u32 v10, s4, v4
	v_add_u32_e32 v7, v7, v8
	v_mul_hi_u32 v9, v4, v10
	v_mul_lo_u32 v11, v4, v7
	v_mul_hi_u32 v8, v4, v7
	v_add_co_u32_e32 v9, vcc, v9, v11
	v_addc_co_u32_e32 v8, vcc, 0, v8, vcc
	v_mul_hi_u32 v12, v5, v10
	v_mul_lo_u32 v10, v5, v10
	v_add_co_u32_e32 v9, vcc, v9, v10
	v_mul_hi_u32 v11, v5, v7
	v_addc_co_u32_e32 v8, vcc, v8, v12, vcc
	v_addc_co_u32_e32 v9, vcc, 0, v11, vcc
	v_mul_lo_u32 v7, v5, v7
	v_add_co_u32_e32 v7, vcc, v8, v7
	v_addc_co_u32_e32 v8, vcc, 0, v9, vcc
	v_add_co_u32_e32 v4, vcc, v4, v7
	v_addc_co_u32_e32 v5, vcc, v5, v8, vcc
	v_mul_lo_u32 v7, s4, v5
	v_mul_hi_u32 v8, s4, v4
	v_add_u32_e32 v7, v8, v7
	v_mul_lo_u32 v8, s5, v4
	v_add_u32_e32 v7, v7, v8
	v_mul_lo_u32 v9, s4, v4
	v_mul_hi_u32 v10, v5, v9
	v_mul_lo_u32 v11, v5, v9
	v_mul_lo_u32 v13, v4, v7
	v_mul_hi_u32 v9, v4, v9
	v_mul_hi_u32 v12, v4, v7
	v_add_co_u32_e32 v9, vcc, v9, v13
	v_addc_co_u32_e32 v12, vcc, 0, v12, vcc
	v_add_co_u32_e32 v9, vcc, v9, v11
	v_mul_hi_u32 v8, v5, v7
	v_addc_co_u32_e32 v9, vcc, v12, v10, vcc
	v_addc_co_u32_e32 v8, vcc, 0, v8, vcc
	v_mul_lo_u32 v7, v5, v7
	v_add_co_u32_e32 v7, vcc, v9, v7
	v_addc_co_u32_e32 v8, vcc, 0, v8, vcc
	v_add_co_u32_e32 v7, vcc, v4, v7
	v_addc_co_u32_e32 v8, vcc, v5, v8, vcc
	v_mad_u64_u32 v[4:5], s[4:5], v1, v8, 0
	v_mul_hi_u32 v9, v1, v7
	v_add_co_u32_e32 v10, vcc, v9, v4
	v_addc_co_u32_e32 v11, vcc, 0, v5, vcc
	v_mad_u64_u32 v[4:5], s[4:5], v6, v8, 0
	v_mad_u64_u32 v[8:9], s[4:5], v6, v7, 0
	v_add_co_u32_e32 v7, vcc, v10, v8
	v_addc_co_u32_e32 v7, vcc, v11, v9, vcc
	v_addc_co_u32_e32 v5, vcc, 0, v5, vcc
	v_add_co_u32_e32 v7, vcc, v7, v4
	v_addc_co_u32_e32 v8, vcc, 0, v5, vcc
	v_mul_lo_u32 v9, s51, v7
	v_mul_lo_u32 v10, s50, v8
	v_mad_u64_u32 v[4:5], s[4:5], s50, v7, 0
	v_add3_u32 v5, v5, v10, v9
	v_sub_u32_e32 v9, v6, v5
	v_mov_b32_e32 v10, s51
	v_sub_co_u32_e32 v1, vcc, v1, v4
	v_subb_co_u32_e64 v4, s[4:5], v9, v10, vcc
	v_subrev_co_u32_e64 v9, s[4:5], s50, v1
	v_subbrev_co_u32_e64 v4, s[4:5], 0, v4, s[4:5]
	v_cmp_le_u32_e64 s[4:5], s51, v4
	v_cndmask_b32_e64 v10, 0, -1, s[4:5]
	v_cmp_le_u32_e64 s[4:5], s50, v9
	v_cndmask_b32_e64 v9, 0, -1, s[4:5]
	v_cmp_eq_u32_e64 s[4:5], s51, v4
	v_cndmask_b32_e64 v4, v10, v9, s[4:5]
	v_add_co_u32_e64 v9, s[4:5], 2, v7
	v_subb_co_u32_e32 v5, vcc, v6, v5, vcc
	v_addc_co_u32_e64 v10, s[4:5], 0, v8, s[4:5]
	v_cmp_le_u32_e32 vcc, s51, v5
	v_add_co_u32_e64 v11, s[4:5], 1, v7
	v_cndmask_b32_e64 v6, 0, -1, vcc
	v_cmp_le_u32_e32 vcc, s50, v1
	v_addc_co_u32_e64 v12, s[4:5], 0, v8, s[4:5]
	v_cndmask_b32_e64 v1, 0, -1, vcc
	v_cmp_eq_u32_e32 vcc, s51, v5
	v_cmp_ne_u32_e64 s[4:5], 0, v4
	v_cndmask_b32_e32 v1, v6, v1, vcc
	v_cndmask_b32_e64 v4, v12, v10, s[4:5]
	v_cmp_ne_u32_e32 vcc, 0, v1
	v_cndmask_b32_e64 v1, v11, v9, s[4:5]
	v_cndmask_b32_e32 v5, v8, v4, vcc
	v_cndmask_b32_e32 v4, v7, v1, vcc
                                        ; implicit-def: $vgpr1
.LBB17_17:
	s_andn2_saveexec_b64 s[4:5], s[12:13]
	s_cbranch_execz .LBB17_19
; %bb.18:
	v_cvt_f32_u32_e32 v4, s50
	s_sub_i32 s12, 0, s50
	v_rcp_iflag_f32_e32 v4, v4
	v_mul_f32_e32 v4, 0x4f7ffffe, v4
	v_cvt_u32_f32_e32 v4, v4
	v_mul_lo_u32 v5, s12, v4
	v_mul_hi_u32 v5, v4, v5
	v_add_u32_e32 v4, v4, v5
	v_mul_hi_u32 v4, v1, v4
	v_mul_lo_u32 v5, v4, s50
	v_sub_u32_e32 v1, v1, v5
	v_add_u32_e32 v6, 1, v4
	v_subrev_u32_e32 v5, s50, v1
	v_cmp_le_u32_e32 vcc, s50, v1
	v_cndmask_b32_e32 v1, v1, v5, vcc
	v_cndmask_b32_e32 v4, v4, v6, vcc
	v_add_u32_e32 v5, 1, v4
	v_cmp_le_u32_e32 vcc, s50, v1
	v_cndmask_b32_e32 v4, v4, v5, vcc
	v_mov_b32_e32 v5, 0
.LBB17_19:
	s_or_b64 exec, exec, s[4:5]
.LBB17_20:
	s_or_b64 exec, exec, s[10:11]
	v_or_b32_e32 v1, 0x200, v0
	v_cmp_gt_u32_e64 s[10:11], s68, v1
	v_pk_mov_b32 v[6:7], v[54:55], v[54:55] op_sel:[0,1]
	s_and_saveexec_b64 s[12:13], s[10:11]
	s_cbranch_execz .LBB17_26
; %bb.21:
	v_mov_b32_e32 v7, s53
	v_add_co_u32_e32 v1, vcc, s52, v1
	v_addc_co_u32_e32 v8, vcc, 0, v7, vcc
	v_mov_b32_e32 v6, 0
	v_or_b32_e32 v7, s51, v8
	v_cmp_ne_u64_e32 vcc, 0, v[6:7]
                                        ; implicit-def: $vgpr6_vgpr7
	s_and_saveexec_b64 s[4:5], vcc
	s_xor_b64 s[14:15], exec, s[4:5]
	s_cbranch_execz .LBB17_23
; %bb.22:
	v_cvt_f32_u32_e32 v6, s50
	v_cvt_f32_u32_e32 v7, s51
	s_sub_u32 s4, 0, s50
	s_subb_u32 s5, 0, s51
	v_madmk_f32 v6, v7, 0x4f800000, v6
	v_rcp_f32_e32 v6, v6
	v_mul_f32_e32 v6, 0x5f7ffffc, v6
	v_mul_f32_e32 v7, 0x2f800000, v6
	v_trunc_f32_e32 v7, v7
	v_madmk_f32 v6, v7, 0xcf800000, v6
	v_cvt_u32_f32_e32 v7, v7
	v_cvt_u32_f32_e32 v6, v6
	v_mul_lo_u32 v9, s4, v7
	v_mul_hi_u32 v11, s4, v6
	v_mul_lo_u32 v10, s5, v6
	v_add_u32_e32 v9, v11, v9
	v_mul_lo_u32 v12, s4, v6
	v_add_u32_e32 v9, v9, v10
	v_mul_hi_u32 v11, v6, v12
	v_mul_lo_u32 v13, v6, v9
	v_mul_hi_u32 v10, v6, v9
	v_add_co_u32_e32 v11, vcc, v11, v13
	v_addc_co_u32_e32 v10, vcc, 0, v10, vcc
	v_mul_hi_u32 v14, v7, v12
	v_mul_lo_u32 v12, v7, v12
	v_add_co_u32_e32 v11, vcc, v11, v12
	v_mul_hi_u32 v13, v7, v9
	v_addc_co_u32_e32 v10, vcc, v10, v14, vcc
	v_addc_co_u32_e32 v11, vcc, 0, v13, vcc
	v_mul_lo_u32 v9, v7, v9
	v_add_co_u32_e32 v9, vcc, v10, v9
	v_addc_co_u32_e32 v10, vcc, 0, v11, vcc
	v_add_co_u32_e32 v6, vcc, v6, v9
	v_addc_co_u32_e32 v7, vcc, v7, v10, vcc
	v_mul_lo_u32 v9, s4, v7
	v_mul_hi_u32 v10, s4, v6
	v_add_u32_e32 v9, v10, v9
	v_mul_lo_u32 v10, s5, v6
	v_add_u32_e32 v9, v9, v10
	v_mul_lo_u32 v11, s4, v6
	v_mul_hi_u32 v12, v7, v11
	v_mul_lo_u32 v13, v7, v11
	v_mul_lo_u32 v15, v6, v9
	v_mul_hi_u32 v11, v6, v11
	v_mul_hi_u32 v14, v6, v9
	v_add_co_u32_e32 v11, vcc, v11, v15
	v_addc_co_u32_e32 v14, vcc, 0, v14, vcc
	v_add_co_u32_e32 v11, vcc, v11, v13
	v_mul_hi_u32 v10, v7, v9
	v_addc_co_u32_e32 v11, vcc, v14, v12, vcc
	v_addc_co_u32_e32 v10, vcc, 0, v10, vcc
	v_mul_lo_u32 v9, v7, v9
	v_add_co_u32_e32 v9, vcc, v11, v9
	v_addc_co_u32_e32 v10, vcc, 0, v10, vcc
	v_add_co_u32_e32 v9, vcc, v6, v9
	v_addc_co_u32_e32 v10, vcc, v7, v10, vcc
	v_mad_u64_u32 v[6:7], s[4:5], v1, v10, 0
	v_mul_hi_u32 v11, v1, v9
	v_add_co_u32_e32 v12, vcc, v11, v6
	v_addc_co_u32_e32 v13, vcc, 0, v7, vcc
	v_mad_u64_u32 v[6:7], s[4:5], v8, v10, 0
	v_mad_u64_u32 v[10:11], s[4:5], v8, v9, 0
	v_add_co_u32_e32 v9, vcc, v12, v10
	v_addc_co_u32_e32 v9, vcc, v13, v11, vcc
	v_addc_co_u32_e32 v7, vcc, 0, v7, vcc
	v_add_co_u32_e32 v9, vcc, v9, v6
	v_addc_co_u32_e32 v10, vcc, 0, v7, vcc
	v_mul_lo_u32 v11, s51, v9
	v_mul_lo_u32 v12, s50, v10
	v_mad_u64_u32 v[6:7], s[4:5], s50, v9, 0
	v_add3_u32 v7, v7, v12, v11
	v_sub_u32_e32 v11, v8, v7
	v_mov_b32_e32 v12, s51
	v_sub_co_u32_e32 v1, vcc, v1, v6
	v_subb_co_u32_e64 v6, s[4:5], v11, v12, vcc
	v_subrev_co_u32_e64 v11, s[4:5], s50, v1
	v_subbrev_co_u32_e64 v6, s[4:5], 0, v6, s[4:5]
	v_cmp_le_u32_e64 s[4:5], s51, v6
	v_cndmask_b32_e64 v12, 0, -1, s[4:5]
	v_cmp_le_u32_e64 s[4:5], s50, v11
	v_cndmask_b32_e64 v11, 0, -1, s[4:5]
	v_cmp_eq_u32_e64 s[4:5], s51, v6
	v_cndmask_b32_e64 v6, v12, v11, s[4:5]
	v_add_co_u32_e64 v11, s[4:5], 2, v9
	v_subb_co_u32_e32 v7, vcc, v8, v7, vcc
	v_addc_co_u32_e64 v12, s[4:5], 0, v10, s[4:5]
	v_cmp_le_u32_e32 vcc, s51, v7
	v_add_co_u32_e64 v13, s[4:5], 1, v9
	v_cndmask_b32_e64 v8, 0, -1, vcc
	v_cmp_le_u32_e32 vcc, s50, v1
	v_addc_co_u32_e64 v14, s[4:5], 0, v10, s[4:5]
	v_cndmask_b32_e64 v1, 0, -1, vcc
	v_cmp_eq_u32_e32 vcc, s51, v7
	v_cmp_ne_u32_e64 s[4:5], 0, v6
	v_cndmask_b32_e32 v1, v8, v1, vcc
	v_cndmask_b32_e64 v6, v14, v12, s[4:5]
	v_cmp_ne_u32_e32 vcc, 0, v1
	v_cndmask_b32_e64 v1, v13, v11, s[4:5]
	v_cndmask_b32_e32 v7, v10, v6, vcc
	v_cndmask_b32_e32 v6, v9, v1, vcc
                                        ; implicit-def: $vgpr1
.LBB17_23:
	s_andn2_saveexec_b64 s[4:5], s[14:15]
	s_cbranch_execz .LBB17_25
; %bb.24:
	v_cvt_f32_u32_e32 v6, s50
	s_sub_i32 s14, 0, s50
	v_rcp_iflag_f32_e32 v6, v6
	v_mul_f32_e32 v6, 0x4f7ffffe, v6
	v_cvt_u32_f32_e32 v6, v6
	v_mul_lo_u32 v7, s14, v6
	v_mul_hi_u32 v7, v6, v7
	v_add_u32_e32 v6, v6, v7
	v_mul_hi_u32 v6, v1, v6
	v_mul_lo_u32 v7, v6, s50
	v_sub_u32_e32 v1, v1, v7
	v_add_u32_e32 v8, 1, v6
	v_subrev_u32_e32 v7, s50, v1
	v_cmp_le_u32_e32 vcc, s50, v1
	v_cndmask_b32_e32 v1, v1, v7, vcc
	v_cndmask_b32_e32 v6, v6, v8, vcc
	v_add_u32_e32 v7, 1, v6
	v_cmp_le_u32_e32 vcc, s50, v1
	v_cndmask_b32_e32 v6, v6, v7, vcc
	v_mov_b32_e32 v7, 0
.LBB17_25:
	s_or_b64 exec, exec, s[4:5]
.LBB17_26:
	s_or_b64 exec, exec, s[12:13]
	v_or_b32_e32 v1, 0x300, v0
	v_cmp_gt_u32_e64 s[12:13], s68, v1
	v_pk_mov_b32 v[8:9], v[54:55], v[54:55] op_sel:[0,1]
	s_and_saveexec_b64 s[14:15], s[12:13]
	s_cbranch_execz .LBB17_32
; %bb.27:
	v_mov_b32_e32 v9, s53
	v_add_co_u32_e32 v1, vcc, s52, v1
	v_addc_co_u32_e32 v10, vcc, 0, v9, vcc
	v_mov_b32_e32 v8, 0
	v_or_b32_e32 v9, s51, v10
	v_cmp_ne_u64_e32 vcc, 0, v[8:9]
                                        ; implicit-def: $vgpr8_vgpr9
	s_and_saveexec_b64 s[4:5], vcc
	s_xor_b64 s[16:17], exec, s[4:5]
	s_cbranch_execz .LBB17_29
; %bb.28:
	v_cvt_f32_u32_e32 v8, s50
	v_cvt_f32_u32_e32 v9, s51
	s_sub_u32 s4, 0, s50
	s_subb_u32 s5, 0, s51
	v_madmk_f32 v8, v9, 0x4f800000, v8
	v_rcp_f32_e32 v8, v8
	v_mul_f32_e32 v8, 0x5f7ffffc, v8
	v_mul_f32_e32 v9, 0x2f800000, v8
	v_trunc_f32_e32 v9, v9
	v_madmk_f32 v8, v9, 0xcf800000, v8
	v_cvt_u32_f32_e32 v9, v9
	v_cvt_u32_f32_e32 v8, v8
	v_mul_lo_u32 v11, s4, v9
	v_mul_hi_u32 v13, s4, v8
	v_mul_lo_u32 v12, s5, v8
	v_add_u32_e32 v11, v13, v11
	v_mul_lo_u32 v14, s4, v8
	v_add_u32_e32 v11, v11, v12
	v_mul_hi_u32 v13, v8, v14
	v_mul_lo_u32 v15, v8, v11
	v_mul_hi_u32 v12, v8, v11
	v_add_co_u32_e32 v13, vcc, v13, v15
	v_addc_co_u32_e32 v12, vcc, 0, v12, vcc
	v_mul_hi_u32 v16, v9, v14
	v_mul_lo_u32 v14, v9, v14
	v_add_co_u32_e32 v13, vcc, v13, v14
	v_mul_hi_u32 v15, v9, v11
	v_addc_co_u32_e32 v12, vcc, v12, v16, vcc
	v_addc_co_u32_e32 v13, vcc, 0, v15, vcc
	v_mul_lo_u32 v11, v9, v11
	v_add_co_u32_e32 v11, vcc, v12, v11
	v_addc_co_u32_e32 v12, vcc, 0, v13, vcc
	v_add_co_u32_e32 v8, vcc, v8, v11
	v_addc_co_u32_e32 v9, vcc, v9, v12, vcc
	v_mul_lo_u32 v11, s4, v9
	v_mul_hi_u32 v12, s4, v8
	v_add_u32_e32 v11, v12, v11
	v_mul_lo_u32 v12, s5, v8
	v_add_u32_e32 v11, v11, v12
	v_mul_lo_u32 v13, s4, v8
	v_mul_hi_u32 v14, v9, v13
	v_mul_lo_u32 v15, v9, v13
	v_mul_lo_u32 v17, v8, v11
	v_mul_hi_u32 v13, v8, v13
	v_mul_hi_u32 v16, v8, v11
	v_add_co_u32_e32 v13, vcc, v13, v17
	v_addc_co_u32_e32 v16, vcc, 0, v16, vcc
	v_add_co_u32_e32 v13, vcc, v13, v15
	v_mul_hi_u32 v12, v9, v11
	v_addc_co_u32_e32 v13, vcc, v16, v14, vcc
	v_addc_co_u32_e32 v12, vcc, 0, v12, vcc
	v_mul_lo_u32 v11, v9, v11
	v_add_co_u32_e32 v11, vcc, v13, v11
	v_addc_co_u32_e32 v12, vcc, 0, v12, vcc
	v_add_co_u32_e32 v11, vcc, v8, v11
	v_addc_co_u32_e32 v12, vcc, v9, v12, vcc
	v_mad_u64_u32 v[8:9], s[4:5], v1, v12, 0
	v_mul_hi_u32 v13, v1, v11
	v_add_co_u32_e32 v14, vcc, v13, v8
	v_addc_co_u32_e32 v15, vcc, 0, v9, vcc
	v_mad_u64_u32 v[8:9], s[4:5], v10, v12, 0
	v_mad_u64_u32 v[12:13], s[4:5], v10, v11, 0
	v_add_co_u32_e32 v11, vcc, v14, v12
	v_addc_co_u32_e32 v11, vcc, v15, v13, vcc
	v_addc_co_u32_e32 v9, vcc, 0, v9, vcc
	v_add_co_u32_e32 v11, vcc, v11, v8
	v_addc_co_u32_e32 v12, vcc, 0, v9, vcc
	v_mul_lo_u32 v13, s51, v11
	v_mul_lo_u32 v14, s50, v12
	v_mad_u64_u32 v[8:9], s[4:5], s50, v11, 0
	v_add3_u32 v9, v9, v14, v13
	v_sub_u32_e32 v13, v10, v9
	v_mov_b32_e32 v14, s51
	v_sub_co_u32_e32 v1, vcc, v1, v8
	v_subb_co_u32_e64 v8, s[4:5], v13, v14, vcc
	v_subrev_co_u32_e64 v13, s[4:5], s50, v1
	v_subbrev_co_u32_e64 v8, s[4:5], 0, v8, s[4:5]
	v_cmp_le_u32_e64 s[4:5], s51, v8
	v_cndmask_b32_e64 v14, 0, -1, s[4:5]
	v_cmp_le_u32_e64 s[4:5], s50, v13
	v_cndmask_b32_e64 v13, 0, -1, s[4:5]
	v_cmp_eq_u32_e64 s[4:5], s51, v8
	v_cndmask_b32_e64 v8, v14, v13, s[4:5]
	v_add_co_u32_e64 v13, s[4:5], 2, v11
	v_subb_co_u32_e32 v9, vcc, v10, v9, vcc
	v_addc_co_u32_e64 v14, s[4:5], 0, v12, s[4:5]
	v_cmp_le_u32_e32 vcc, s51, v9
	v_add_co_u32_e64 v15, s[4:5], 1, v11
	v_cndmask_b32_e64 v10, 0, -1, vcc
	v_cmp_le_u32_e32 vcc, s50, v1
	v_addc_co_u32_e64 v16, s[4:5], 0, v12, s[4:5]
	v_cndmask_b32_e64 v1, 0, -1, vcc
	v_cmp_eq_u32_e32 vcc, s51, v9
	v_cmp_ne_u32_e64 s[4:5], 0, v8
	v_cndmask_b32_e32 v1, v10, v1, vcc
	v_cndmask_b32_e64 v8, v16, v14, s[4:5]
	v_cmp_ne_u32_e32 vcc, 0, v1
	v_cndmask_b32_e64 v1, v15, v13, s[4:5]
	v_cndmask_b32_e32 v9, v12, v8, vcc
	v_cndmask_b32_e32 v8, v11, v1, vcc
                                        ; implicit-def: $vgpr1
.LBB17_29:
	s_andn2_saveexec_b64 s[4:5], s[16:17]
	s_cbranch_execz .LBB17_31
; %bb.30:
	v_cvt_f32_u32_e32 v8, s50
	s_sub_i32 s16, 0, s50
	v_rcp_iflag_f32_e32 v8, v8
	v_mul_f32_e32 v8, 0x4f7ffffe, v8
	v_cvt_u32_f32_e32 v8, v8
	v_mul_lo_u32 v9, s16, v8
	v_mul_hi_u32 v9, v8, v9
	v_add_u32_e32 v8, v8, v9
	v_mul_hi_u32 v8, v1, v8
	v_mul_lo_u32 v9, v8, s50
	v_sub_u32_e32 v1, v1, v9
	v_add_u32_e32 v10, 1, v8
	v_subrev_u32_e32 v9, s50, v1
	v_cmp_le_u32_e32 vcc, s50, v1
	v_cndmask_b32_e32 v1, v1, v9, vcc
	v_cndmask_b32_e32 v8, v8, v10, vcc
	v_add_u32_e32 v9, 1, v8
	v_cmp_le_u32_e32 vcc, s50, v1
	v_cndmask_b32_e32 v8, v8, v9, vcc
	v_mov_b32_e32 v9, 0
.LBB17_31:
	s_or_b64 exec, exec, s[4:5]
.LBB17_32:
	s_or_b64 exec, exec, s[14:15]
	v_or_b32_e32 v1, 0x400, v0
	v_cmp_gt_u32_e64 s[14:15], s68, v1
	v_pk_mov_b32 v[10:11], v[54:55], v[54:55] op_sel:[0,1]
	s_and_saveexec_b64 s[16:17], s[14:15]
	s_cbranch_execz .LBB17_38
; %bb.33:
	v_mov_b32_e32 v11, s53
	v_add_co_u32_e32 v12, vcc, s52, v1
	v_addc_co_u32_e32 v13, vcc, 0, v11, vcc
	v_mov_b32_e32 v10, 0
	v_or_b32_e32 v11, s51, v13
	v_cmp_ne_u64_e32 vcc, 0, v[10:11]
                                        ; implicit-def: $vgpr10_vgpr11
	s_and_saveexec_b64 s[4:5], vcc
	s_xor_b64 s[18:19], exec, s[4:5]
	s_cbranch_execz .LBB17_35
; %bb.34:
	v_cvt_f32_u32_e32 v10, s50
	v_cvt_f32_u32_e32 v11, s51
	s_sub_u32 s4, 0, s50
	s_subb_u32 s5, 0, s51
	v_madmk_f32 v10, v11, 0x4f800000, v10
	v_rcp_f32_e32 v10, v10
	v_mul_f32_e32 v10, 0x5f7ffffc, v10
	v_mul_f32_e32 v11, 0x2f800000, v10
	v_trunc_f32_e32 v11, v11
	v_madmk_f32 v10, v11, 0xcf800000, v10
	v_cvt_u32_f32_e32 v11, v11
	v_cvt_u32_f32_e32 v10, v10
	v_mul_lo_u32 v14, s4, v11
	v_mul_hi_u32 v16, s4, v10
	v_mul_lo_u32 v15, s5, v10
	v_add_u32_e32 v14, v16, v14
	v_mul_lo_u32 v17, s4, v10
	v_add_u32_e32 v14, v14, v15
	v_mul_hi_u32 v16, v10, v17
	v_mul_lo_u32 v18, v10, v14
	v_mul_hi_u32 v15, v10, v14
	v_add_co_u32_e32 v16, vcc, v16, v18
	v_addc_co_u32_e32 v15, vcc, 0, v15, vcc
	v_mul_hi_u32 v19, v11, v17
	v_mul_lo_u32 v17, v11, v17
	v_add_co_u32_e32 v16, vcc, v16, v17
	v_mul_hi_u32 v18, v11, v14
	v_addc_co_u32_e32 v15, vcc, v15, v19, vcc
	v_addc_co_u32_e32 v16, vcc, 0, v18, vcc
	v_mul_lo_u32 v14, v11, v14
	v_add_co_u32_e32 v14, vcc, v15, v14
	v_addc_co_u32_e32 v15, vcc, 0, v16, vcc
	v_add_co_u32_e32 v10, vcc, v10, v14
	v_addc_co_u32_e32 v11, vcc, v11, v15, vcc
	v_mul_lo_u32 v14, s4, v11
	v_mul_hi_u32 v15, s4, v10
	v_add_u32_e32 v14, v15, v14
	v_mul_lo_u32 v15, s5, v10
	v_add_u32_e32 v14, v14, v15
	v_mul_lo_u32 v16, s4, v10
	v_mul_hi_u32 v17, v11, v16
	v_mul_lo_u32 v18, v11, v16
	v_mul_lo_u32 v20, v10, v14
	v_mul_hi_u32 v16, v10, v16
	v_mul_hi_u32 v19, v10, v14
	v_add_co_u32_e32 v16, vcc, v16, v20
	v_addc_co_u32_e32 v19, vcc, 0, v19, vcc
	v_add_co_u32_e32 v16, vcc, v16, v18
	v_mul_hi_u32 v15, v11, v14
	v_addc_co_u32_e32 v16, vcc, v19, v17, vcc
	v_addc_co_u32_e32 v15, vcc, 0, v15, vcc
	v_mul_lo_u32 v14, v11, v14
	v_add_co_u32_e32 v14, vcc, v16, v14
	v_addc_co_u32_e32 v15, vcc, 0, v15, vcc
	v_add_co_u32_e32 v14, vcc, v10, v14
	v_addc_co_u32_e32 v15, vcc, v11, v15, vcc
	v_mad_u64_u32 v[10:11], s[4:5], v12, v15, 0
	v_mul_hi_u32 v16, v12, v14
	v_add_co_u32_e32 v16, vcc, v16, v10
	v_addc_co_u32_e32 v17, vcc, 0, v11, vcc
	v_mad_u64_u32 v[10:11], s[4:5], v13, v15, 0
	v_mad_u64_u32 v[14:15], s[4:5], v13, v14, 0
	v_add_co_u32_e32 v14, vcc, v16, v14
	v_addc_co_u32_e32 v14, vcc, v17, v15, vcc
	v_addc_co_u32_e32 v11, vcc, 0, v11, vcc
	v_add_co_u32_e32 v14, vcc, v14, v10
	v_addc_co_u32_e32 v15, vcc, 0, v11, vcc
	v_mul_lo_u32 v16, s51, v14
	v_mul_lo_u32 v17, s50, v15
	v_mad_u64_u32 v[10:11], s[4:5], s50, v14, 0
	v_add3_u32 v11, v11, v17, v16
	v_sub_u32_e32 v16, v13, v11
	v_mov_b32_e32 v17, s51
	v_sub_co_u32_e32 v10, vcc, v12, v10
	v_subb_co_u32_e64 v12, s[4:5], v16, v17, vcc
	v_subrev_co_u32_e64 v16, s[4:5], s50, v10
	v_subbrev_co_u32_e64 v12, s[4:5], 0, v12, s[4:5]
	v_cmp_le_u32_e64 s[4:5], s51, v12
	v_cndmask_b32_e64 v17, 0, -1, s[4:5]
	v_cmp_le_u32_e64 s[4:5], s50, v16
	v_cndmask_b32_e64 v16, 0, -1, s[4:5]
	v_cmp_eq_u32_e64 s[4:5], s51, v12
	v_cndmask_b32_e64 v12, v17, v16, s[4:5]
	v_add_co_u32_e64 v16, s[4:5], 2, v14
	v_subb_co_u32_e32 v11, vcc, v13, v11, vcc
	v_addc_co_u32_e64 v17, s[4:5], 0, v15, s[4:5]
	v_cmp_le_u32_e32 vcc, s51, v11
	v_add_co_u32_e64 v18, s[4:5], 1, v14
	v_cndmask_b32_e64 v13, 0, -1, vcc
	v_cmp_le_u32_e32 vcc, s50, v10
	v_addc_co_u32_e64 v19, s[4:5], 0, v15, s[4:5]
	v_cndmask_b32_e64 v10, 0, -1, vcc
	v_cmp_eq_u32_e32 vcc, s51, v11
	v_cmp_ne_u32_e64 s[4:5], 0, v12
	v_cndmask_b32_e32 v10, v13, v10, vcc
	v_cndmask_b32_e64 v12, v19, v17, s[4:5]
	v_cmp_ne_u32_e32 vcc, 0, v10
	v_cndmask_b32_e64 v10, v18, v16, s[4:5]
	v_cndmask_b32_e32 v11, v15, v12, vcc
	v_cndmask_b32_e32 v10, v14, v10, vcc
                                        ; implicit-def: $vgpr12
.LBB17_35:
	s_andn2_saveexec_b64 s[4:5], s[18:19]
	s_cbranch_execz .LBB17_37
; %bb.36:
	v_cvt_f32_u32_e32 v10, s50
	s_sub_i32 s18, 0, s50
	v_rcp_iflag_f32_e32 v10, v10
	v_mul_f32_e32 v10, 0x4f7ffffe, v10
	v_cvt_u32_f32_e32 v10, v10
	v_mul_lo_u32 v11, s18, v10
	v_mul_hi_u32 v11, v10, v11
	v_add_u32_e32 v10, v10, v11
	v_mul_hi_u32 v10, v12, v10
	v_mul_lo_u32 v11, v10, s50
	v_sub_u32_e32 v11, v12, v11
	v_add_u32_e32 v13, 1, v10
	v_subrev_u32_e32 v12, s50, v11
	v_cmp_le_u32_e32 vcc, s50, v11
	v_cndmask_b32_e32 v11, v11, v12, vcc
	v_cndmask_b32_e32 v10, v10, v13, vcc
	v_add_u32_e32 v12, 1, v10
	v_cmp_le_u32_e32 vcc, s50, v11
	v_cndmask_b32_e32 v10, v10, v12, vcc
	v_mov_b32_e32 v11, 0
.LBB17_37:
	s_or_b64 exec, exec, s[4:5]
.LBB17_38:
	s_or_b64 exec, exec, s[16:17]
	v_or_b32_e32 v56, 0x500, v0
	v_cmp_gt_u32_e64 s[16:17], s68, v56
	v_pk_mov_b32 v[12:13], v[54:55], v[54:55] op_sel:[0,1]
	s_and_saveexec_b64 s[18:19], s[16:17]
	s_cbranch_execz .LBB17_44
; %bb.39:
	v_mov_b32_e32 v13, s53
	v_add_co_u32_e32 v14, vcc, s52, v56
	v_addc_co_u32_e32 v15, vcc, 0, v13, vcc
	v_mov_b32_e32 v12, 0
	v_or_b32_e32 v13, s51, v15
	v_cmp_ne_u64_e32 vcc, 0, v[12:13]
                                        ; implicit-def: $vgpr12_vgpr13
	s_and_saveexec_b64 s[4:5], vcc
	s_xor_b64 s[20:21], exec, s[4:5]
	s_cbranch_execz .LBB17_41
; %bb.40:
	v_cvt_f32_u32_e32 v12, s50
	v_cvt_f32_u32_e32 v13, s51
	s_sub_u32 s4, 0, s50
	s_subb_u32 s5, 0, s51
	v_madmk_f32 v12, v13, 0x4f800000, v12
	v_rcp_f32_e32 v12, v12
	v_mul_f32_e32 v12, 0x5f7ffffc, v12
	v_mul_f32_e32 v13, 0x2f800000, v12
	v_trunc_f32_e32 v13, v13
	v_madmk_f32 v12, v13, 0xcf800000, v12
	v_cvt_u32_f32_e32 v13, v13
	v_cvt_u32_f32_e32 v12, v12
	v_mul_lo_u32 v16, s4, v13
	v_mul_hi_u32 v18, s4, v12
	v_mul_lo_u32 v17, s5, v12
	v_add_u32_e32 v16, v18, v16
	v_mul_lo_u32 v19, s4, v12
	v_add_u32_e32 v16, v16, v17
	v_mul_hi_u32 v18, v12, v19
	v_mul_lo_u32 v20, v12, v16
	v_mul_hi_u32 v17, v12, v16
	v_add_co_u32_e32 v18, vcc, v18, v20
	v_addc_co_u32_e32 v17, vcc, 0, v17, vcc
	v_mul_hi_u32 v21, v13, v19
	v_mul_lo_u32 v19, v13, v19
	v_add_co_u32_e32 v18, vcc, v18, v19
	v_mul_hi_u32 v20, v13, v16
	v_addc_co_u32_e32 v17, vcc, v17, v21, vcc
	v_addc_co_u32_e32 v18, vcc, 0, v20, vcc
	v_mul_lo_u32 v16, v13, v16
	v_add_co_u32_e32 v16, vcc, v17, v16
	v_addc_co_u32_e32 v17, vcc, 0, v18, vcc
	v_add_co_u32_e32 v12, vcc, v12, v16
	v_addc_co_u32_e32 v13, vcc, v13, v17, vcc
	v_mul_lo_u32 v16, s4, v13
	v_mul_hi_u32 v17, s4, v12
	v_add_u32_e32 v16, v17, v16
	v_mul_lo_u32 v17, s5, v12
	v_add_u32_e32 v16, v16, v17
	v_mul_lo_u32 v18, s4, v12
	v_mul_hi_u32 v19, v13, v18
	v_mul_lo_u32 v20, v13, v18
	v_mul_lo_u32 v22, v12, v16
	v_mul_hi_u32 v18, v12, v18
	v_mul_hi_u32 v21, v12, v16
	v_add_co_u32_e32 v18, vcc, v18, v22
	v_addc_co_u32_e32 v21, vcc, 0, v21, vcc
	v_add_co_u32_e32 v18, vcc, v18, v20
	v_mul_hi_u32 v17, v13, v16
	v_addc_co_u32_e32 v18, vcc, v21, v19, vcc
	v_addc_co_u32_e32 v17, vcc, 0, v17, vcc
	v_mul_lo_u32 v16, v13, v16
	v_add_co_u32_e32 v16, vcc, v18, v16
	v_addc_co_u32_e32 v17, vcc, 0, v17, vcc
	v_add_co_u32_e32 v16, vcc, v12, v16
	v_addc_co_u32_e32 v17, vcc, v13, v17, vcc
	v_mad_u64_u32 v[12:13], s[4:5], v14, v17, 0
	v_mul_hi_u32 v18, v14, v16
	v_add_co_u32_e32 v18, vcc, v18, v12
	v_addc_co_u32_e32 v19, vcc, 0, v13, vcc
	v_mad_u64_u32 v[12:13], s[4:5], v15, v17, 0
	v_mad_u64_u32 v[16:17], s[4:5], v15, v16, 0
	v_add_co_u32_e32 v16, vcc, v18, v16
	v_addc_co_u32_e32 v16, vcc, v19, v17, vcc
	v_addc_co_u32_e32 v13, vcc, 0, v13, vcc
	v_add_co_u32_e32 v16, vcc, v16, v12
	v_addc_co_u32_e32 v17, vcc, 0, v13, vcc
	v_mul_lo_u32 v18, s51, v16
	v_mul_lo_u32 v19, s50, v17
	v_mad_u64_u32 v[12:13], s[4:5], s50, v16, 0
	v_add3_u32 v13, v13, v19, v18
	v_sub_u32_e32 v18, v15, v13
	v_mov_b32_e32 v19, s51
	v_sub_co_u32_e32 v12, vcc, v14, v12
	v_subb_co_u32_e64 v14, s[4:5], v18, v19, vcc
	v_subrev_co_u32_e64 v18, s[4:5], s50, v12
	v_subbrev_co_u32_e64 v14, s[4:5], 0, v14, s[4:5]
	v_cmp_le_u32_e64 s[4:5], s51, v14
	v_cndmask_b32_e64 v19, 0, -1, s[4:5]
	v_cmp_le_u32_e64 s[4:5], s50, v18
	v_cndmask_b32_e64 v18, 0, -1, s[4:5]
	v_cmp_eq_u32_e64 s[4:5], s51, v14
	v_cndmask_b32_e64 v14, v19, v18, s[4:5]
	v_add_co_u32_e64 v18, s[4:5], 2, v16
	v_subb_co_u32_e32 v13, vcc, v15, v13, vcc
	v_addc_co_u32_e64 v19, s[4:5], 0, v17, s[4:5]
	v_cmp_le_u32_e32 vcc, s51, v13
	v_add_co_u32_e64 v20, s[4:5], 1, v16
	v_cndmask_b32_e64 v15, 0, -1, vcc
	v_cmp_le_u32_e32 vcc, s50, v12
	v_addc_co_u32_e64 v21, s[4:5], 0, v17, s[4:5]
	v_cndmask_b32_e64 v12, 0, -1, vcc
	v_cmp_eq_u32_e32 vcc, s51, v13
	v_cmp_ne_u32_e64 s[4:5], 0, v14
	v_cndmask_b32_e32 v12, v15, v12, vcc
	v_cndmask_b32_e64 v14, v21, v19, s[4:5]
	v_cmp_ne_u32_e32 vcc, 0, v12
	v_cndmask_b32_e64 v12, v20, v18, s[4:5]
	v_cndmask_b32_e32 v13, v17, v14, vcc
	v_cndmask_b32_e32 v12, v16, v12, vcc
                                        ; implicit-def: $vgpr14
.LBB17_41:
	s_andn2_saveexec_b64 s[4:5], s[20:21]
	s_cbranch_execz .LBB17_43
; %bb.42:
	v_cvt_f32_u32_e32 v12, s50
	s_sub_i32 s20, 0, s50
	v_rcp_iflag_f32_e32 v12, v12
	v_mul_f32_e32 v12, 0x4f7ffffe, v12
	v_cvt_u32_f32_e32 v12, v12
	v_mul_lo_u32 v13, s20, v12
	v_mul_hi_u32 v13, v12, v13
	v_add_u32_e32 v12, v12, v13
	v_mul_hi_u32 v12, v14, v12
	v_mul_lo_u32 v13, v12, s50
	v_sub_u32_e32 v13, v14, v13
	v_add_u32_e32 v15, 1, v12
	v_subrev_u32_e32 v14, s50, v13
	v_cmp_le_u32_e32 vcc, s50, v13
	v_cndmask_b32_e32 v13, v13, v14, vcc
	v_cndmask_b32_e32 v12, v12, v15, vcc
	v_add_u32_e32 v14, 1, v12
	v_cmp_le_u32_e32 vcc, s50, v13
	v_cndmask_b32_e32 v12, v12, v14, vcc
	v_mov_b32_e32 v13, 0
.LBB17_43:
	s_or_b64 exec, exec, s[4:5]
.LBB17_44:
	s_or_b64 exec, exec, s[18:19]
	v_or_b32_e32 v57, 0x600, v0
	v_cmp_gt_u32_e64 s[18:19], s68, v57
	v_pk_mov_b32 v[14:15], v[54:55], v[54:55] op_sel:[0,1]
	s_and_saveexec_b64 s[20:21], s[18:19]
	s_cbranch_execz .LBB17_50
; %bb.45:
	v_mov_b32_e32 v15, s53
	v_add_co_u32_e32 v16, vcc, s52, v57
	v_addc_co_u32_e32 v17, vcc, 0, v15, vcc
	v_mov_b32_e32 v14, 0
	v_or_b32_e32 v15, s51, v17
	v_cmp_ne_u64_e32 vcc, 0, v[14:15]
                                        ; implicit-def: $vgpr14_vgpr15
	s_and_saveexec_b64 s[4:5], vcc
	s_xor_b64 s[22:23], exec, s[4:5]
	s_cbranch_execz .LBB17_47
; %bb.46:
	v_cvt_f32_u32_e32 v14, s50
	v_cvt_f32_u32_e32 v15, s51
	s_sub_u32 s4, 0, s50
	s_subb_u32 s5, 0, s51
	v_madmk_f32 v14, v15, 0x4f800000, v14
	v_rcp_f32_e32 v14, v14
	v_mul_f32_e32 v14, 0x5f7ffffc, v14
	v_mul_f32_e32 v15, 0x2f800000, v14
	v_trunc_f32_e32 v15, v15
	v_madmk_f32 v14, v15, 0xcf800000, v14
	v_cvt_u32_f32_e32 v15, v15
	v_cvt_u32_f32_e32 v14, v14
	v_mul_lo_u32 v18, s4, v15
	v_mul_hi_u32 v20, s4, v14
	v_mul_lo_u32 v19, s5, v14
	v_add_u32_e32 v18, v20, v18
	v_mul_lo_u32 v21, s4, v14
	v_add_u32_e32 v18, v18, v19
	v_mul_hi_u32 v20, v14, v21
	v_mul_lo_u32 v22, v14, v18
	v_mul_hi_u32 v19, v14, v18
	v_add_co_u32_e32 v20, vcc, v20, v22
	v_addc_co_u32_e32 v19, vcc, 0, v19, vcc
	v_mul_hi_u32 v23, v15, v21
	v_mul_lo_u32 v21, v15, v21
	v_add_co_u32_e32 v20, vcc, v20, v21
	v_mul_hi_u32 v22, v15, v18
	v_addc_co_u32_e32 v19, vcc, v19, v23, vcc
	v_addc_co_u32_e32 v20, vcc, 0, v22, vcc
	v_mul_lo_u32 v18, v15, v18
	v_add_co_u32_e32 v18, vcc, v19, v18
	v_addc_co_u32_e32 v19, vcc, 0, v20, vcc
	v_add_co_u32_e32 v14, vcc, v14, v18
	v_addc_co_u32_e32 v15, vcc, v15, v19, vcc
	v_mul_lo_u32 v18, s4, v15
	v_mul_hi_u32 v19, s4, v14
	v_add_u32_e32 v18, v19, v18
	v_mul_lo_u32 v19, s5, v14
	v_add_u32_e32 v18, v18, v19
	v_mul_lo_u32 v20, s4, v14
	v_mul_hi_u32 v21, v15, v20
	v_mul_lo_u32 v22, v15, v20
	v_mul_lo_u32 v24, v14, v18
	v_mul_hi_u32 v20, v14, v20
	v_mul_hi_u32 v23, v14, v18
	v_add_co_u32_e32 v20, vcc, v20, v24
	v_addc_co_u32_e32 v23, vcc, 0, v23, vcc
	v_add_co_u32_e32 v20, vcc, v20, v22
	v_mul_hi_u32 v19, v15, v18
	v_addc_co_u32_e32 v20, vcc, v23, v21, vcc
	v_addc_co_u32_e32 v19, vcc, 0, v19, vcc
	v_mul_lo_u32 v18, v15, v18
	v_add_co_u32_e32 v18, vcc, v20, v18
	v_addc_co_u32_e32 v19, vcc, 0, v19, vcc
	v_add_co_u32_e32 v18, vcc, v14, v18
	v_addc_co_u32_e32 v19, vcc, v15, v19, vcc
	v_mad_u64_u32 v[14:15], s[4:5], v16, v19, 0
	v_mul_hi_u32 v20, v16, v18
	v_add_co_u32_e32 v20, vcc, v20, v14
	v_addc_co_u32_e32 v21, vcc, 0, v15, vcc
	v_mad_u64_u32 v[14:15], s[4:5], v17, v19, 0
	v_mad_u64_u32 v[18:19], s[4:5], v17, v18, 0
	v_add_co_u32_e32 v18, vcc, v20, v18
	v_addc_co_u32_e32 v18, vcc, v21, v19, vcc
	v_addc_co_u32_e32 v15, vcc, 0, v15, vcc
	v_add_co_u32_e32 v18, vcc, v18, v14
	v_addc_co_u32_e32 v19, vcc, 0, v15, vcc
	v_mul_lo_u32 v20, s51, v18
	v_mul_lo_u32 v21, s50, v19
	v_mad_u64_u32 v[14:15], s[4:5], s50, v18, 0
	v_add3_u32 v15, v15, v21, v20
	v_sub_u32_e32 v20, v17, v15
	v_mov_b32_e32 v21, s51
	v_sub_co_u32_e32 v14, vcc, v16, v14
	v_subb_co_u32_e64 v16, s[4:5], v20, v21, vcc
	v_subrev_co_u32_e64 v20, s[4:5], s50, v14
	v_subbrev_co_u32_e64 v16, s[4:5], 0, v16, s[4:5]
	v_cmp_le_u32_e64 s[4:5], s51, v16
	v_cndmask_b32_e64 v21, 0, -1, s[4:5]
	v_cmp_le_u32_e64 s[4:5], s50, v20
	v_cndmask_b32_e64 v20, 0, -1, s[4:5]
	v_cmp_eq_u32_e64 s[4:5], s51, v16
	v_cndmask_b32_e64 v16, v21, v20, s[4:5]
	v_add_co_u32_e64 v20, s[4:5], 2, v18
	v_subb_co_u32_e32 v15, vcc, v17, v15, vcc
	v_addc_co_u32_e64 v21, s[4:5], 0, v19, s[4:5]
	v_cmp_le_u32_e32 vcc, s51, v15
	v_add_co_u32_e64 v22, s[4:5], 1, v18
	v_cndmask_b32_e64 v17, 0, -1, vcc
	v_cmp_le_u32_e32 vcc, s50, v14
	v_addc_co_u32_e64 v23, s[4:5], 0, v19, s[4:5]
	v_cndmask_b32_e64 v14, 0, -1, vcc
	v_cmp_eq_u32_e32 vcc, s51, v15
	v_cmp_ne_u32_e64 s[4:5], 0, v16
	v_cndmask_b32_e32 v14, v17, v14, vcc
	v_cndmask_b32_e64 v16, v23, v21, s[4:5]
	v_cmp_ne_u32_e32 vcc, 0, v14
	v_cndmask_b32_e64 v14, v22, v20, s[4:5]
	v_cndmask_b32_e32 v15, v19, v16, vcc
	v_cndmask_b32_e32 v14, v18, v14, vcc
                                        ; implicit-def: $vgpr16
.LBB17_47:
	s_andn2_saveexec_b64 s[4:5], s[22:23]
	s_cbranch_execz .LBB17_49
; %bb.48:
	v_cvt_f32_u32_e32 v14, s50
	s_sub_i32 s22, 0, s50
	v_rcp_iflag_f32_e32 v14, v14
	v_mul_f32_e32 v14, 0x4f7ffffe, v14
	v_cvt_u32_f32_e32 v14, v14
	v_mul_lo_u32 v15, s22, v14
	v_mul_hi_u32 v15, v14, v15
	v_add_u32_e32 v14, v14, v15
	v_mul_hi_u32 v14, v16, v14
	v_mul_lo_u32 v15, v14, s50
	v_sub_u32_e32 v15, v16, v15
	v_add_u32_e32 v17, 1, v14
	v_subrev_u32_e32 v16, s50, v15
	v_cmp_le_u32_e32 vcc, s50, v15
	v_cndmask_b32_e32 v15, v15, v16, vcc
	v_cndmask_b32_e32 v14, v14, v17, vcc
	v_add_u32_e32 v16, 1, v14
	v_cmp_le_u32_e32 vcc, s50, v15
	v_cndmask_b32_e32 v14, v14, v16, vcc
	v_mov_b32_e32 v15, 0
.LBB17_49:
	s_or_b64 exec, exec, s[4:5]
.LBB17_50:
	s_or_b64 exec, exec, s[20:21]
	v_or_b32_e32 v58, 0x700, v0
	v_cmp_gt_u32_e64 s[20:21], s68, v58
	v_pk_mov_b32 v[16:17], v[54:55], v[54:55] op_sel:[0,1]
	s_and_saveexec_b64 s[22:23], s[20:21]
	s_cbranch_execz .LBB17_56
; %bb.51:
	v_mov_b32_e32 v17, s53
	v_add_co_u32_e32 v18, vcc, s52, v58
	v_addc_co_u32_e32 v19, vcc, 0, v17, vcc
	v_mov_b32_e32 v16, 0
	v_or_b32_e32 v17, s51, v19
	v_cmp_ne_u64_e32 vcc, 0, v[16:17]
                                        ; implicit-def: $vgpr16_vgpr17
	s_and_saveexec_b64 s[4:5], vcc
	s_xor_b64 s[24:25], exec, s[4:5]
	s_cbranch_execz .LBB17_53
; %bb.52:
	v_cvt_f32_u32_e32 v16, s50
	v_cvt_f32_u32_e32 v17, s51
	s_sub_u32 s4, 0, s50
	s_subb_u32 s5, 0, s51
	v_madmk_f32 v16, v17, 0x4f800000, v16
	v_rcp_f32_e32 v16, v16
	v_mul_f32_e32 v16, 0x5f7ffffc, v16
	v_mul_f32_e32 v17, 0x2f800000, v16
	v_trunc_f32_e32 v17, v17
	v_madmk_f32 v16, v17, 0xcf800000, v16
	v_cvt_u32_f32_e32 v17, v17
	v_cvt_u32_f32_e32 v16, v16
	v_mul_lo_u32 v20, s4, v17
	v_mul_hi_u32 v22, s4, v16
	v_mul_lo_u32 v21, s5, v16
	v_add_u32_e32 v20, v22, v20
	v_mul_lo_u32 v23, s4, v16
	v_add_u32_e32 v20, v20, v21
	v_mul_hi_u32 v22, v16, v23
	v_mul_lo_u32 v24, v16, v20
	v_mul_hi_u32 v21, v16, v20
	v_add_co_u32_e32 v22, vcc, v22, v24
	v_addc_co_u32_e32 v21, vcc, 0, v21, vcc
	v_mul_hi_u32 v25, v17, v23
	v_mul_lo_u32 v23, v17, v23
	v_add_co_u32_e32 v22, vcc, v22, v23
	v_mul_hi_u32 v24, v17, v20
	v_addc_co_u32_e32 v21, vcc, v21, v25, vcc
	v_addc_co_u32_e32 v22, vcc, 0, v24, vcc
	v_mul_lo_u32 v20, v17, v20
	v_add_co_u32_e32 v20, vcc, v21, v20
	v_addc_co_u32_e32 v21, vcc, 0, v22, vcc
	v_add_co_u32_e32 v16, vcc, v16, v20
	v_addc_co_u32_e32 v17, vcc, v17, v21, vcc
	v_mul_lo_u32 v20, s4, v17
	v_mul_hi_u32 v21, s4, v16
	v_add_u32_e32 v20, v21, v20
	v_mul_lo_u32 v21, s5, v16
	v_add_u32_e32 v20, v20, v21
	v_mul_lo_u32 v22, s4, v16
	v_mul_hi_u32 v23, v17, v22
	v_mul_lo_u32 v24, v17, v22
	v_mul_lo_u32 v26, v16, v20
	v_mul_hi_u32 v22, v16, v22
	v_mul_hi_u32 v25, v16, v20
	v_add_co_u32_e32 v22, vcc, v22, v26
	v_addc_co_u32_e32 v25, vcc, 0, v25, vcc
	v_add_co_u32_e32 v22, vcc, v22, v24
	v_mul_hi_u32 v21, v17, v20
	v_addc_co_u32_e32 v22, vcc, v25, v23, vcc
	v_addc_co_u32_e32 v21, vcc, 0, v21, vcc
	v_mul_lo_u32 v20, v17, v20
	v_add_co_u32_e32 v20, vcc, v22, v20
	v_addc_co_u32_e32 v21, vcc, 0, v21, vcc
	v_add_co_u32_e32 v20, vcc, v16, v20
	v_addc_co_u32_e32 v21, vcc, v17, v21, vcc
	v_mad_u64_u32 v[16:17], s[4:5], v18, v21, 0
	v_mul_hi_u32 v22, v18, v20
	v_add_co_u32_e32 v22, vcc, v22, v16
	v_addc_co_u32_e32 v23, vcc, 0, v17, vcc
	v_mad_u64_u32 v[16:17], s[4:5], v19, v21, 0
	v_mad_u64_u32 v[20:21], s[4:5], v19, v20, 0
	v_add_co_u32_e32 v20, vcc, v22, v20
	v_addc_co_u32_e32 v20, vcc, v23, v21, vcc
	v_addc_co_u32_e32 v17, vcc, 0, v17, vcc
	v_add_co_u32_e32 v20, vcc, v20, v16
	v_addc_co_u32_e32 v21, vcc, 0, v17, vcc
	v_mul_lo_u32 v22, s51, v20
	v_mul_lo_u32 v23, s50, v21
	v_mad_u64_u32 v[16:17], s[4:5], s50, v20, 0
	v_add3_u32 v17, v17, v23, v22
	v_sub_u32_e32 v22, v19, v17
	v_mov_b32_e32 v23, s51
	v_sub_co_u32_e32 v16, vcc, v18, v16
	v_subb_co_u32_e64 v18, s[4:5], v22, v23, vcc
	v_subrev_co_u32_e64 v22, s[4:5], s50, v16
	v_subbrev_co_u32_e64 v18, s[4:5], 0, v18, s[4:5]
	v_cmp_le_u32_e64 s[4:5], s51, v18
	v_cndmask_b32_e64 v23, 0, -1, s[4:5]
	v_cmp_le_u32_e64 s[4:5], s50, v22
	v_cndmask_b32_e64 v22, 0, -1, s[4:5]
	v_cmp_eq_u32_e64 s[4:5], s51, v18
	v_cndmask_b32_e64 v18, v23, v22, s[4:5]
	v_add_co_u32_e64 v22, s[4:5], 2, v20
	v_subb_co_u32_e32 v17, vcc, v19, v17, vcc
	v_addc_co_u32_e64 v23, s[4:5], 0, v21, s[4:5]
	v_cmp_le_u32_e32 vcc, s51, v17
	v_add_co_u32_e64 v24, s[4:5], 1, v20
	v_cndmask_b32_e64 v19, 0, -1, vcc
	v_cmp_le_u32_e32 vcc, s50, v16
	v_addc_co_u32_e64 v25, s[4:5], 0, v21, s[4:5]
	v_cndmask_b32_e64 v16, 0, -1, vcc
	v_cmp_eq_u32_e32 vcc, s51, v17
	v_cmp_ne_u32_e64 s[4:5], 0, v18
	v_cndmask_b32_e32 v16, v19, v16, vcc
	v_cndmask_b32_e64 v18, v25, v23, s[4:5]
	v_cmp_ne_u32_e32 vcc, 0, v16
	v_cndmask_b32_e64 v16, v24, v22, s[4:5]
	v_cndmask_b32_e32 v17, v21, v18, vcc
	v_cndmask_b32_e32 v16, v20, v16, vcc
                                        ; implicit-def: $vgpr18
.LBB17_53:
	s_andn2_saveexec_b64 s[4:5], s[24:25]
	s_cbranch_execz .LBB17_55
; %bb.54:
	v_cvt_f32_u32_e32 v16, s50
	s_sub_i32 s24, 0, s50
	v_rcp_iflag_f32_e32 v16, v16
	v_mul_f32_e32 v16, 0x4f7ffffe, v16
	v_cvt_u32_f32_e32 v16, v16
	v_mul_lo_u32 v17, s24, v16
	v_mul_hi_u32 v17, v16, v17
	v_add_u32_e32 v16, v16, v17
	v_mul_hi_u32 v16, v18, v16
	v_mul_lo_u32 v17, v16, s50
	v_sub_u32_e32 v17, v18, v17
	v_add_u32_e32 v19, 1, v16
	v_subrev_u32_e32 v18, s50, v17
	v_cmp_le_u32_e32 vcc, s50, v17
	v_cndmask_b32_e32 v17, v17, v18, vcc
	v_cndmask_b32_e32 v16, v16, v19, vcc
	v_add_u32_e32 v18, 1, v16
	v_cmp_le_u32_e32 vcc, s50, v17
	v_cndmask_b32_e32 v16, v16, v18, vcc
	v_mov_b32_e32 v17, 0
.LBB17_55:
	s_or_b64 exec, exec, s[4:5]
.LBB17_56:
	s_or_b64 exec, exec, s[22:23]
	v_or_b32_e32 v59, 0x800, v0
	v_cmp_gt_u32_e64 s[22:23], s68, v59
	v_pk_mov_b32 v[18:19], v[54:55], v[54:55] op_sel:[0,1]
	s_and_saveexec_b64 s[24:25], s[22:23]
	s_cbranch_execz .LBB17_62
; %bb.57:
	v_mov_b32_e32 v19, s53
	v_add_co_u32_e32 v20, vcc, s52, v59
	v_addc_co_u32_e32 v21, vcc, 0, v19, vcc
	v_mov_b32_e32 v18, 0
	v_or_b32_e32 v19, s51, v21
	v_cmp_ne_u64_e32 vcc, 0, v[18:19]
                                        ; implicit-def: $vgpr18_vgpr19
	s_and_saveexec_b64 s[4:5], vcc
	s_xor_b64 s[26:27], exec, s[4:5]
	s_cbranch_execz .LBB17_59
; %bb.58:
	v_cvt_f32_u32_e32 v18, s50
	v_cvt_f32_u32_e32 v19, s51
	s_sub_u32 s4, 0, s50
	s_subb_u32 s5, 0, s51
	v_madmk_f32 v18, v19, 0x4f800000, v18
	v_rcp_f32_e32 v18, v18
	v_mul_f32_e32 v18, 0x5f7ffffc, v18
	v_mul_f32_e32 v19, 0x2f800000, v18
	v_trunc_f32_e32 v19, v19
	v_madmk_f32 v18, v19, 0xcf800000, v18
	v_cvt_u32_f32_e32 v19, v19
	v_cvt_u32_f32_e32 v18, v18
	v_mul_lo_u32 v22, s4, v19
	v_mul_hi_u32 v24, s4, v18
	v_mul_lo_u32 v23, s5, v18
	v_add_u32_e32 v22, v24, v22
	v_mul_lo_u32 v25, s4, v18
	v_add_u32_e32 v22, v22, v23
	v_mul_hi_u32 v24, v18, v25
	v_mul_lo_u32 v26, v18, v22
	v_mul_hi_u32 v23, v18, v22
	v_add_co_u32_e32 v24, vcc, v24, v26
	v_addc_co_u32_e32 v23, vcc, 0, v23, vcc
	v_mul_hi_u32 v27, v19, v25
	v_mul_lo_u32 v25, v19, v25
	v_add_co_u32_e32 v24, vcc, v24, v25
	v_mul_hi_u32 v26, v19, v22
	v_addc_co_u32_e32 v23, vcc, v23, v27, vcc
	v_addc_co_u32_e32 v24, vcc, 0, v26, vcc
	v_mul_lo_u32 v22, v19, v22
	v_add_co_u32_e32 v22, vcc, v23, v22
	v_addc_co_u32_e32 v23, vcc, 0, v24, vcc
	v_add_co_u32_e32 v18, vcc, v18, v22
	v_addc_co_u32_e32 v19, vcc, v19, v23, vcc
	v_mul_lo_u32 v22, s4, v19
	v_mul_hi_u32 v23, s4, v18
	v_add_u32_e32 v22, v23, v22
	v_mul_lo_u32 v23, s5, v18
	v_add_u32_e32 v22, v22, v23
	v_mul_lo_u32 v24, s4, v18
	v_mul_hi_u32 v25, v19, v24
	v_mul_lo_u32 v26, v19, v24
	v_mul_lo_u32 v28, v18, v22
	v_mul_hi_u32 v24, v18, v24
	v_mul_hi_u32 v27, v18, v22
	v_add_co_u32_e32 v24, vcc, v24, v28
	v_addc_co_u32_e32 v27, vcc, 0, v27, vcc
	v_add_co_u32_e32 v24, vcc, v24, v26
	v_mul_hi_u32 v23, v19, v22
	v_addc_co_u32_e32 v24, vcc, v27, v25, vcc
	v_addc_co_u32_e32 v23, vcc, 0, v23, vcc
	v_mul_lo_u32 v22, v19, v22
	v_add_co_u32_e32 v22, vcc, v24, v22
	v_addc_co_u32_e32 v23, vcc, 0, v23, vcc
	v_add_co_u32_e32 v22, vcc, v18, v22
	v_addc_co_u32_e32 v23, vcc, v19, v23, vcc
	v_mad_u64_u32 v[18:19], s[4:5], v20, v23, 0
	v_mul_hi_u32 v24, v20, v22
	v_add_co_u32_e32 v24, vcc, v24, v18
	v_addc_co_u32_e32 v25, vcc, 0, v19, vcc
	v_mad_u64_u32 v[18:19], s[4:5], v21, v23, 0
	v_mad_u64_u32 v[22:23], s[4:5], v21, v22, 0
	v_add_co_u32_e32 v22, vcc, v24, v22
	v_addc_co_u32_e32 v22, vcc, v25, v23, vcc
	v_addc_co_u32_e32 v19, vcc, 0, v19, vcc
	v_add_co_u32_e32 v22, vcc, v22, v18
	v_addc_co_u32_e32 v23, vcc, 0, v19, vcc
	v_mul_lo_u32 v24, s51, v22
	v_mul_lo_u32 v25, s50, v23
	v_mad_u64_u32 v[18:19], s[4:5], s50, v22, 0
	v_add3_u32 v19, v19, v25, v24
	v_sub_u32_e32 v24, v21, v19
	v_mov_b32_e32 v25, s51
	v_sub_co_u32_e32 v18, vcc, v20, v18
	v_subb_co_u32_e64 v20, s[4:5], v24, v25, vcc
	v_subrev_co_u32_e64 v24, s[4:5], s50, v18
	v_subbrev_co_u32_e64 v20, s[4:5], 0, v20, s[4:5]
	v_cmp_le_u32_e64 s[4:5], s51, v20
	v_cndmask_b32_e64 v25, 0, -1, s[4:5]
	v_cmp_le_u32_e64 s[4:5], s50, v24
	v_cndmask_b32_e64 v24, 0, -1, s[4:5]
	v_cmp_eq_u32_e64 s[4:5], s51, v20
	v_cndmask_b32_e64 v20, v25, v24, s[4:5]
	v_add_co_u32_e64 v24, s[4:5], 2, v22
	v_subb_co_u32_e32 v19, vcc, v21, v19, vcc
	v_addc_co_u32_e64 v25, s[4:5], 0, v23, s[4:5]
	v_cmp_le_u32_e32 vcc, s51, v19
	v_add_co_u32_e64 v26, s[4:5], 1, v22
	v_cndmask_b32_e64 v21, 0, -1, vcc
	v_cmp_le_u32_e32 vcc, s50, v18
	v_addc_co_u32_e64 v27, s[4:5], 0, v23, s[4:5]
	v_cndmask_b32_e64 v18, 0, -1, vcc
	v_cmp_eq_u32_e32 vcc, s51, v19
	v_cmp_ne_u32_e64 s[4:5], 0, v20
	v_cndmask_b32_e32 v18, v21, v18, vcc
	v_cndmask_b32_e64 v20, v27, v25, s[4:5]
	v_cmp_ne_u32_e32 vcc, 0, v18
	v_cndmask_b32_e64 v18, v26, v24, s[4:5]
	v_cndmask_b32_e32 v19, v23, v20, vcc
	v_cndmask_b32_e32 v18, v22, v18, vcc
                                        ; implicit-def: $vgpr20
.LBB17_59:
	s_andn2_saveexec_b64 s[4:5], s[26:27]
	s_cbranch_execz .LBB17_61
; %bb.60:
	v_cvt_f32_u32_e32 v18, s50
	s_sub_i32 s26, 0, s50
	v_rcp_iflag_f32_e32 v18, v18
	v_mul_f32_e32 v18, 0x4f7ffffe, v18
	v_cvt_u32_f32_e32 v18, v18
	v_mul_lo_u32 v19, s26, v18
	v_mul_hi_u32 v19, v18, v19
	v_add_u32_e32 v18, v18, v19
	v_mul_hi_u32 v18, v20, v18
	v_mul_lo_u32 v19, v18, s50
	v_sub_u32_e32 v19, v20, v19
	v_add_u32_e32 v21, 1, v18
	v_subrev_u32_e32 v20, s50, v19
	v_cmp_le_u32_e32 vcc, s50, v19
	v_cndmask_b32_e32 v19, v19, v20, vcc
	v_cndmask_b32_e32 v18, v18, v21, vcc
	v_add_u32_e32 v20, 1, v18
	v_cmp_le_u32_e32 vcc, s50, v19
	v_cndmask_b32_e32 v18, v18, v20, vcc
	v_mov_b32_e32 v19, 0
.LBB17_61:
	s_or_b64 exec, exec, s[4:5]
.LBB17_62:
	s_or_b64 exec, exec, s[24:25]
	v_or_b32_e32 v60, 0x900, v0
	v_cmp_gt_u32_e64 s[24:25], s68, v60
	v_pk_mov_b32 v[20:21], v[54:55], v[54:55] op_sel:[0,1]
	s_and_saveexec_b64 s[26:27], s[24:25]
	s_cbranch_execz .LBB17_68
; %bb.63:
	v_mov_b32_e32 v21, s53
	v_add_co_u32_e32 v22, vcc, s52, v60
	v_addc_co_u32_e32 v23, vcc, 0, v21, vcc
	v_mov_b32_e32 v20, 0
	v_or_b32_e32 v21, s51, v23
	v_cmp_ne_u64_e32 vcc, 0, v[20:21]
                                        ; implicit-def: $vgpr20_vgpr21
	s_and_saveexec_b64 s[4:5], vcc
	s_xor_b64 s[28:29], exec, s[4:5]
	s_cbranch_execz .LBB17_65
; %bb.64:
	v_cvt_f32_u32_e32 v20, s50
	v_cvt_f32_u32_e32 v21, s51
	s_sub_u32 s4, 0, s50
	s_subb_u32 s5, 0, s51
	v_madmk_f32 v20, v21, 0x4f800000, v20
	v_rcp_f32_e32 v20, v20
	v_mul_f32_e32 v20, 0x5f7ffffc, v20
	v_mul_f32_e32 v21, 0x2f800000, v20
	v_trunc_f32_e32 v21, v21
	v_madmk_f32 v20, v21, 0xcf800000, v20
	v_cvt_u32_f32_e32 v21, v21
	v_cvt_u32_f32_e32 v20, v20
	v_mul_lo_u32 v24, s4, v21
	v_mul_hi_u32 v26, s4, v20
	v_mul_lo_u32 v25, s5, v20
	v_add_u32_e32 v24, v26, v24
	v_mul_lo_u32 v27, s4, v20
	v_add_u32_e32 v24, v24, v25
	v_mul_hi_u32 v26, v20, v27
	v_mul_lo_u32 v28, v20, v24
	v_mul_hi_u32 v25, v20, v24
	v_add_co_u32_e32 v26, vcc, v26, v28
	v_addc_co_u32_e32 v25, vcc, 0, v25, vcc
	v_mul_hi_u32 v29, v21, v27
	v_mul_lo_u32 v27, v21, v27
	v_add_co_u32_e32 v26, vcc, v26, v27
	v_mul_hi_u32 v28, v21, v24
	v_addc_co_u32_e32 v25, vcc, v25, v29, vcc
	v_addc_co_u32_e32 v26, vcc, 0, v28, vcc
	v_mul_lo_u32 v24, v21, v24
	v_add_co_u32_e32 v24, vcc, v25, v24
	v_addc_co_u32_e32 v25, vcc, 0, v26, vcc
	v_add_co_u32_e32 v20, vcc, v20, v24
	v_addc_co_u32_e32 v21, vcc, v21, v25, vcc
	v_mul_lo_u32 v24, s4, v21
	v_mul_hi_u32 v25, s4, v20
	v_add_u32_e32 v24, v25, v24
	v_mul_lo_u32 v25, s5, v20
	v_add_u32_e32 v24, v24, v25
	v_mul_lo_u32 v26, s4, v20
	v_mul_hi_u32 v27, v21, v26
	v_mul_lo_u32 v28, v21, v26
	v_mul_lo_u32 v30, v20, v24
	v_mul_hi_u32 v26, v20, v26
	v_mul_hi_u32 v29, v20, v24
	v_add_co_u32_e32 v26, vcc, v26, v30
	v_addc_co_u32_e32 v29, vcc, 0, v29, vcc
	v_add_co_u32_e32 v26, vcc, v26, v28
	v_mul_hi_u32 v25, v21, v24
	v_addc_co_u32_e32 v26, vcc, v29, v27, vcc
	v_addc_co_u32_e32 v25, vcc, 0, v25, vcc
	v_mul_lo_u32 v24, v21, v24
	v_add_co_u32_e32 v24, vcc, v26, v24
	v_addc_co_u32_e32 v25, vcc, 0, v25, vcc
	v_add_co_u32_e32 v24, vcc, v20, v24
	v_addc_co_u32_e32 v25, vcc, v21, v25, vcc
	v_mad_u64_u32 v[20:21], s[4:5], v22, v25, 0
	v_mul_hi_u32 v26, v22, v24
	v_add_co_u32_e32 v26, vcc, v26, v20
	v_addc_co_u32_e32 v27, vcc, 0, v21, vcc
	v_mad_u64_u32 v[20:21], s[4:5], v23, v25, 0
	v_mad_u64_u32 v[24:25], s[4:5], v23, v24, 0
	v_add_co_u32_e32 v24, vcc, v26, v24
	v_addc_co_u32_e32 v24, vcc, v27, v25, vcc
	v_addc_co_u32_e32 v21, vcc, 0, v21, vcc
	v_add_co_u32_e32 v24, vcc, v24, v20
	v_addc_co_u32_e32 v25, vcc, 0, v21, vcc
	v_mul_lo_u32 v26, s51, v24
	v_mul_lo_u32 v27, s50, v25
	v_mad_u64_u32 v[20:21], s[4:5], s50, v24, 0
	v_add3_u32 v21, v21, v27, v26
	v_sub_u32_e32 v26, v23, v21
	v_mov_b32_e32 v27, s51
	v_sub_co_u32_e32 v20, vcc, v22, v20
	v_subb_co_u32_e64 v22, s[4:5], v26, v27, vcc
	v_subrev_co_u32_e64 v26, s[4:5], s50, v20
	v_subbrev_co_u32_e64 v22, s[4:5], 0, v22, s[4:5]
	v_cmp_le_u32_e64 s[4:5], s51, v22
	v_cndmask_b32_e64 v27, 0, -1, s[4:5]
	v_cmp_le_u32_e64 s[4:5], s50, v26
	v_cndmask_b32_e64 v26, 0, -1, s[4:5]
	v_cmp_eq_u32_e64 s[4:5], s51, v22
	v_cndmask_b32_e64 v22, v27, v26, s[4:5]
	v_add_co_u32_e64 v26, s[4:5], 2, v24
	v_subb_co_u32_e32 v21, vcc, v23, v21, vcc
	v_addc_co_u32_e64 v27, s[4:5], 0, v25, s[4:5]
	v_cmp_le_u32_e32 vcc, s51, v21
	v_add_co_u32_e64 v28, s[4:5], 1, v24
	v_cndmask_b32_e64 v23, 0, -1, vcc
	v_cmp_le_u32_e32 vcc, s50, v20
	v_addc_co_u32_e64 v29, s[4:5], 0, v25, s[4:5]
	v_cndmask_b32_e64 v20, 0, -1, vcc
	v_cmp_eq_u32_e32 vcc, s51, v21
	v_cmp_ne_u32_e64 s[4:5], 0, v22
	v_cndmask_b32_e32 v20, v23, v20, vcc
	v_cndmask_b32_e64 v22, v29, v27, s[4:5]
	v_cmp_ne_u32_e32 vcc, 0, v20
	v_cndmask_b32_e64 v20, v28, v26, s[4:5]
	v_cndmask_b32_e32 v21, v25, v22, vcc
	v_cndmask_b32_e32 v20, v24, v20, vcc
                                        ; implicit-def: $vgpr22
.LBB17_65:
	s_andn2_saveexec_b64 s[4:5], s[28:29]
	s_cbranch_execz .LBB17_67
; %bb.66:
	v_cvt_f32_u32_e32 v20, s50
	s_sub_i32 s28, 0, s50
	v_rcp_iflag_f32_e32 v20, v20
	v_mul_f32_e32 v20, 0x4f7ffffe, v20
	v_cvt_u32_f32_e32 v20, v20
	v_mul_lo_u32 v21, s28, v20
	v_mul_hi_u32 v21, v20, v21
	v_add_u32_e32 v20, v20, v21
	v_mul_hi_u32 v20, v22, v20
	v_mul_lo_u32 v21, v20, s50
	v_sub_u32_e32 v21, v22, v21
	v_add_u32_e32 v23, 1, v20
	v_subrev_u32_e32 v22, s50, v21
	v_cmp_le_u32_e32 vcc, s50, v21
	v_cndmask_b32_e32 v21, v21, v22, vcc
	v_cndmask_b32_e32 v20, v20, v23, vcc
	v_add_u32_e32 v22, 1, v20
	v_cmp_le_u32_e32 vcc, s50, v21
	v_cndmask_b32_e32 v20, v20, v22, vcc
	v_mov_b32_e32 v21, 0
.LBB17_67:
	s_or_b64 exec, exec, s[4:5]
.LBB17_68:
	s_or_b64 exec, exec, s[26:27]
	v_or_b32_e32 v61, 0xa00, v0
	v_cmp_gt_u32_e64 s[26:27], s68, v61
	v_pk_mov_b32 v[22:23], v[54:55], v[54:55] op_sel:[0,1]
	s_and_saveexec_b64 s[28:29], s[26:27]
	s_cbranch_execz .LBB17_74
; %bb.69:
	v_mov_b32_e32 v23, s53
	v_add_co_u32_e32 v24, vcc, s52, v61
	v_addc_co_u32_e32 v25, vcc, 0, v23, vcc
	v_mov_b32_e32 v22, 0
	v_or_b32_e32 v23, s51, v25
	v_cmp_ne_u64_e32 vcc, 0, v[22:23]
                                        ; implicit-def: $vgpr22_vgpr23
	s_and_saveexec_b64 s[4:5], vcc
	s_xor_b64 s[30:31], exec, s[4:5]
	s_cbranch_execz .LBB17_71
; %bb.70:
	v_cvt_f32_u32_e32 v22, s50
	v_cvt_f32_u32_e32 v23, s51
	s_sub_u32 s4, 0, s50
	s_subb_u32 s5, 0, s51
	v_madmk_f32 v22, v23, 0x4f800000, v22
	v_rcp_f32_e32 v22, v22
	v_mul_f32_e32 v22, 0x5f7ffffc, v22
	v_mul_f32_e32 v23, 0x2f800000, v22
	v_trunc_f32_e32 v23, v23
	v_madmk_f32 v22, v23, 0xcf800000, v22
	v_cvt_u32_f32_e32 v23, v23
	v_cvt_u32_f32_e32 v22, v22
	v_mul_lo_u32 v26, s4, v23
	v_mul_hi_u32 v28, s4, v22
	v_mul_lo_u32 v27, s5, v22
	v_add_u32_e32 v26, v28, v26
	v_mul_lo_u32 v29, s4, v22
	v_add_u32_e32 v26, v26, v27
	v_mul_hi_u32 v28, v22, v29
	v_mul_lo_u32 v30, v22, v26
	v_mul_hi_u32 v27, v22, v26
	v_add_co_u32_e32 v28, vcc, v28, v30
	v_addc_co_u32_e32 v27, vcc, 0, v27, vcc
	v_mul_hi_u32 v31, v23, v29
	v_mul_lo_u32 v29, v23, v29
	v_add_co_u32_e32 v28, vcc, v28, v29
	v_mul_hi_u32 v30, v23, v26
	v_addc_co_u32_e32 v27, vcc, v27, v31, vcc
	v_addc_co_u32_e32 v28, vcc, 0, v30, vcc
	v_mul_lo_u32 v26, v23, v26
	v_add_co_u32_e32 v26, vcc, v27, v26
	v_addc_co_u32_e32 v27, vcc, 0, v28, vcc
	v_add_co_u32_e32 v22, vcc, v22, v26
	v_addc_co_u32_e32 v23, vcc, v23, v27, vcc
	v_mul_lo_u32 v26, s4, v23
	v_mul_hi_u32 v27, s4, v22
	v_add_u32_e32 v26, v27, v26
	v_mul_lo_u32 v27, s5, v22
	v_add_u32_e32 v26, v26, v27
	v_mul_lo_u32 v28, s4, v22
	v_mul_hi_u32 v29, v23, v28
	v_mul_lo_u32 v30, v23, v28
	v_mul_lo_u32 v32, v22, v26
	v_mul_hi_u32 v28, v22, v28
	v_mul_hi_u32 v31, v22, v26
	v_add_co_u32_e32 v28, vcc, v28, v32
	v_addc_co_u32_e32 v31, vcc, 0, v31, vcc
	v_add_co_u32_e32 v28, vcc, v28, v30
	v_mul_hi_u32 v27, v23, v26
	v_addc_co_u32_e32 v28, vcc, v31, v29, vcc
	v_addc_co_u32_e32 v27, vcc, 0, v27, vcc
	v_mul_lo_u32 v26, v23, v26
	v_add_co_u32_e32 v26, vcc, v28, v26
	v_addc_co_u32_e32 v27, vcc, 0, v27, vcc
	v_add_co_u32_e32 v26, vcc, v22, v26
	v_addc_co_u32_e32 v27, vcc, v23, v27, vcc
	v_mad_u64_u32 v[22:23], s[4:5], v24, v27, 0
	v_mul_hi_u32 v28, v24, v26
	v_add_co_u32_e32 v28, vcc, v28, v22
	v_addc_co_u32_e32 v29, vcc, 0, v23, vcc
	v_mad_u64_u32 v[22:23], s[4:5], v25, v27, 0
	v_mad_u64_u32 v[26:27], s[4:5], v25, v26, 0
	v_add_co_u32_e32 v26, vcc, v28, v26
	v_addc_co_u32_e32 v26, vcc, v29, v27, vcc
	v_addc_co_u32_e32 v23, vcc, 0, v23, vcc
	v_add_co_u32_e32 v26, vcc, v26, v22
	v_addc_co_u32_e32 v27, vcc, 0, v23, vcc
	v_mul_lo_u32 v28, s51, v26
	v_mul_lo_u32 v29, s50, v27
	v_mad_u64_u32 v[22:23], s[4:5], s50, v26, 0
	v_add3_u32 v23, v23, v29, v28
	v_sub_u32_e32 v28, v25, v23
	v_mov_b32_e32 v29, s51
	v_sub_co_u32_e32 v22, vcc, v24, v22
	v_subb_co_u32_e64 v24, s[4:5], v28, v29, vcc
	v_subrev_co_u32_e64 v28, s[4:5], s50, v22
	v_subbrev_co_u32_e64 v24, s[4:5], 0, v24, s[4:5]
	v_cmp_le_u32_e64 s[4:5], s51, v24
	v_cndmask_b32_e64 v29, 0, -1, s[4:5]
	v_cmp_le_u32_e64 s[4:5], s50, v28
	v_cndmask_b32_e64 v28, 0, -1, s[4:5]
	v_cmp_eq_u32_e64 s[4:5], s51, v24
	v_cndmask_b32_e64 v24, v29, v28, s[4:5]
	v_add_co_u32_e64 v28, s[4:5], 2, v26
	v_subb_co_u32_e32 v23, vcc, v25, v23, vcc
	v_addc_co_u32_e64 v29, s[4:5], 0, v27, s[4:5]
	v_cmp_le_u32_e32 vcc, s51, v23
	v_add_co_u32_e64 v30, s[4:5], 1, v26
	v_cndmask_b32_e64 v25, 0, -1, vcc
	v_cmp_le_u32_e32 vcc, s50, v22
	v_addc_co_u32_e64 v31, s[4:5], 0, v27, s[4:5]
	v_cndmask_b32_e64 v22, 0, -1, vcc
	v_cmp_eq_u32_e32 vcc, s51, v23
	v_cmp_ne_u32_e64 s[4:5], 0, v24
	v_cndmask_b32_e32 v22, v25, v22, vcc
	v_cndmask_b32_e64 v24, v31, v29, s[4:5]
	v_cmp_ne_u32_e32 vcc, 0, v22
	v_cndmask_b32_e64 v22, v30, v28, s[4:5]
	v_cndmask_b32_e32 v23, v27, v24, vcc
	v_cndmask_b32_e32 v22, v26, v22, vcc
                                        ; implicit-def: $vgpr24
.LBB17_71:
	s_andn2_saveexec_b64 s[4:5], s[30:31]
	s_cbranch_execz .LBB17_73
; %bb.72:
	v_cvt_f32_u32_e32 v22, s50
	s_sub_i32 s30, 0, s50
	v_rcp_iflag_f32_e32 v22, v22
	v_mul_f32_e32 v22, 0x4f7ffffe, v22
	v_cvt_u32_f32_e32 v22, v22
	v_mul_lo_u32 v23, s30, v22
	v_mul_hi_u32 v23, v22, v23
	v_add_u32_e32 v22, v22, v23
	v_mul_hi_u32 v22, v24, v22
	v_mul_lo_u32 v23, v22, s50
	v_sub_u32_e32 v23, v24, v23
	v_add_u32_e32 v25, 1, v22
	v_subrev_u32_e32 v24, s50, v23
	v_cmp_le_u32_e32 vcc, s50, v23
	v_cndmask_b32_e32 v23, v23, v24, vcc
	v_cndmask_b32_e32 v22, v22, v25, vcc
	v_add_u32_e32 v24, 1, v22
	v_cmp_le_u32_e32 vcc, s50, v23
	v_cndmask_b32_e32 v22, v22, v24, vcc
	v_mov_b32_e32 v23, 0
.LBB17_73:
	s_or_b64 exec, exec, s[4:5]
.LBB17_74:
	s_or_b64 exec, exec, s[28:29]
	v_or_b32_e32 v62, 0xb00, v0
	v_cmp_gt_u32_e64 s[28:29], s68, v62
	v_pk_mov_b32 v[24:25], v[54:55], v[54:55] op_sel:[0,1]
	s_and_saveexec_b64 s[30:31], s[28:29]
	s_cbranch_execz .LBB17_80
; %bb.75:
	v_mov_b32_e32 v25, s53
	v_add_co_u32_e32 v26, vcc, s52, v62
	v_addc_co_u32_e32 v27, vcc, 0, v25, vcc
	v_mov_b32_e32 v24, 0
	v_or_b32_e32 v25, s51, v27
	v_cmp_ne_u64_e32 vcc, 0, v[24:25]
                                        ; implicit-def: $vgpr24_vgpr25
	s_and_saveexec_b64 s[4:5], vcc
	s_xor_b64 s[34:35], exec, s[4:5]
	s_cbranch_execz .LBB17_77
; %bb.76:
	v_cvt_f32_u32_e32 v24, s50
	v_cvt_f32_u32_e32 v25, s51
	s_sub_u32 s4, 0, s50
	s_subb_u32 s5, 0, s51
	v_madmk_f32 v24, v25, 0x4f800000, v24
	v_rcp_f32_e32 v24, v24
	v_mul_f32_e32 v24, 0x5f7ffffc, v24
	v_mul_f32_e32 v25, 0x2f800000, v24
	v_trunc_f32_e32 v25, v25
	v_madmk_f32 v24, v25, 0xcf800000, v24
	v_cvt_u32_f32_e32 v25, v25
	v_cvt_u32_f32_e32 v24, v24
	v_mul_lo_u32 v28, s4, v25
	v_mul_hi_u32 v30, s4, v24
	v_mul_lo_u32 v29, s5, v24
	v_add_u32_e32 v28, v30, v28
	v_mul_lo_u32 v31, s4, v24
	v_add_u32_e32 v28, v28, v29
	v_mul_hi_u32 v30, v24, v31
	v_mul_lo_u32 v32, v24, v28
	v_mul_hi_u32 v29, v24, v28
	v_add_co_u32_e32 v30, vcc, v30, v32
	v_addc_co_u32_e32 v29, vcc, 0, v29, vcc
	v_mul_hi_u32 v33, v25, v31
	v_mul_lo_u32 v31, v25, v31
	v_add_co_u32_e32 v30, vcc, v30, v31
	v_mul_hi_u32 v32, v25, v28
	v_addc_co_u32_e32 v29, vcc, v29, v33, vcc
	v_addc_co_u32_e32 v30, vcc, 0, v32, vcc
	v_mul_lo_u32 v28, v25, v28
	v_add_co_u32_e32 v28, vcc, v29, v28
	v_addc_co_u32_e32 v29, vcc, 0, v30, vcc
	v_add_co_u32_e32 v24, vcc, v24, v28
	v_addc_co_u32_e32 v25, vcc, v25, v29, vcc
	v_mul_lo_u32 v28, s4, v25
	v_mul_hi_u32 v29, s4, v24
	v_add_u32_e32 v28, v29, v28
	v_mul_lo_u32 v29, s5, v24
	v_add_u32_e32 v28, v28, v29
	v_mul_lo_u32 v30, s4, v24
	v_mul_hi_u32 v31, v25, v30
	v_mul_lo_u32 v32, v25, v30
	v_mul_lo_u32 v34, v24, v28
	v_mul_hi_u32 v30, v24, v30
	v_mul_hi_u32 v33, v24, v28
	v_add_co_u32_e32 v30, vcc, v30, v34
	v_addc_co_u32_e32 v33, vcc, 0, v33, vcc
	v_add_co_u32_e32 v30, vcc, v30, v32
	v_mul_hi_u32 v29, v25, v28
	v_addc_co_u32_e32 v30, vcc, v33, v31, vcc
	v_addc_co_u32_e32 v29, vcc, 0, v29, vcc
	v_mul_lo_u32 v28, v25, v28
	v_add_co_u32_e32 v28, vcc, v30, v28
	v_addc_co_u32_e32 v29, vcc, 0, v29, vcc
	v_add_co_u32_e32 v28, vcc, v24, v28
	v_addc_co_u32_e32 v29, vcc, v25, v29, vcc
	v_mad_u64_u32 v[24:25], s[4:5], v26, v29, 0
	v_mul_hi_u32 v30, v26, v28
	v_add_co_u32_e32 v30, vcc, v30, v24
	v_addc_co_u32_e32 v31, vcc, 0, v25, vcc
	v_mad_u64_u32 v[24:25], s[4:5], v27, v29, 0
	v_mad_u64_u32 v[28:29], s[4:5], v27, v28, 0
	v_add_co_u32_e32 v28, vcc, v30, v28
	v_addc_co_u32_e32 v28, vcc, v31, v29, vcc
	v_addc_co_u32_e32 v25, vcc, 0, v25, vcc
	v_add_co_u32_e32 v28, vcc, v28, v24
	v_addc_co_u32_e32 v29, vcc, 0, v25, vcc
	v_mul_lo_u32 v30, s51, v28
	v_mul_lo_u32 v31, s50, v29
	v_mad_u64_u32 v[24:25], s[4:5], s50, v28, 0
	v_add3_u32 v25, v25, v31, v30
	v_sub_u32_e32 v30, v27, v25
	v_mov_b32_e32 v31, s51
	v_sub_co_u32_e32 v24, vcc, v26, v24
	v_subb_co_u32_e64 v26, s[4:5], v30, v31, vcc
	v_subrev_co_u32_e64 v30, s[4:5], s50, v24
	v_subbrev_co_u32_e64 v26, s[4:5], 0, v26, s[4:5]
	v_cmp_le_u32_e64 s[4:5], s51, v26
	v_cndmask_b32_e64 v31, 0, -1, s[4:5]
	v_cmp_le_u32_e64 s[4:5], s50, v30
	v_cndmask_b32_e64 v30, 0, -1, s[4:5]
	v_cmp_eq_u32_e64 s[4:5], s51, v26
	v_cndmask_b32_e64 v26, v31, v30, s[4:5]
	v_add_co_u32_e64 v30, s[4:5], 2, v28
	v_subb_co_u32_e32 v25, vcc, v27, v25, vcc
	v_addc_co_u32_e64 v31, s[4:5], 0, v29, s[4:5]
	v_cmp_le_u32_e32 vcc, s51, v25
	v_add_co_u32_e64 v32, s[4:5], 1, v28
	v_cndmask_b32_e64 v27, 0, -1, vcc
	v_cmp_le_u32_e32 vcc, s50, v24
	v_addc_co_u32_e64 v33, s[4:5], 0, v29, s[4:5]
	v_cndmask_b32_e64 v24, 0, -1, vcc
	v_cmp_eq_u32_e32 vcc, s51, v25
	v_cmp_ne_u32_e64 s[4:5], 0, v26
	v_cndmask_b32_e32 v24, v27, v24, vcc
	v_cndmask_b32_e64 v26, v33, v31, s[4:5]
	v_cmp_ne_u32_e32 vcc, 0, v24
	v_cndmask_b32_e64 v24, v32, v30, s[4:5]
	v_cndmask_b32_e32 v25, v29, v26, vcc
	v_cndmask_b32_e32 v24, v28, v24, vcc
                                        ; implicit-def: $vgpr26
.LBB17_77:
	s_andn2_saveexec_b64 s[4:5], s[34:35]
	s_cbranch_execz .LBB17_79
; %bb.78:
	v_cvt_f32_u32_e32 v24, s50
	s_sub_i32 s34, 0, s50
	v_rcp_iflag_f32_e32 v24, v24
	v_mul_f32_e32 v24, 0x4f7ffffe, v24
	v_cvt_u32_f32_e32 v24, v24
	v_mul_lo_u32 v25, s34, v24
	v_mul_hi_u32 v25, v24, v25
	v_add_u32_e32 v24, v24, v25
	v_mul_hi_u32 v24, v26, v24
	v_mul_lo_u32 v25, v24, s50
	v_sub_u32_e32 v25, v26, v25
	v_add_u32_e32 v27, 1, v24
	v_subrev_u32_e32 v26, s50, v25
	v_cmp_le_u32_e32 vcc, s50, v25
	v_cndmask_b32_e32 v25, v25, v26, vcc
	v_cndmask_b32_e32 v24, v24, v27, vcc
	v_add_u32_e32 v26, 1, v24
	v_cmp_le_u32_e32 vcc, s50, v25
	v_cndmask_b32_e32 v24, v24, v26, vcc
	v_mov_b32_e32 v25, 0
.LBB17_79:
	s_or_b64 exec, exec, s[4:5]
.LBB17_80:
	s_or_b64 exec, exec, s[30:31]
	v_or_b32_e32 v63, 0xc00, v0
	v_cmp_gt_u32_e64 s[30:31], s68, v63
	v_pk_mov_b32 v[26:27], v[54:55], v[54:55] op_sel:[0,1]
	s_and_saveexec_b64 s[34:35], s[30:31]
	s_cbranch_execz .LBB17_86
; %bb.81:
	v_mov_b32_e32 v27, s53
	v_add_co_u32_e32 v28, vcc, s52, v63
	v_addc_co_u32_e32 v29, vcc, 0, v27, vcc
	v_mov_b32_e32 v26, 0
	v_or_b32_e32 v27, s51, v29
	v_cmp_ne_u64_e32 vcc, 0, v[26:27]
                                        ; implicit-def: $vgpr26_vgpr27
	s_and_saveexec_b64 s[4:5], vcc
	s_xor_b64 s[40:41], exec, s[4:5]
	s_cbranch_execz .LBB17_83
; %bb.82:
	v_cvt_f32_u32_e32 v26, s50
	v_cvt_f32_u32_e32 v27, s51
	s_sub_u32 s4, 0, s50
	s_subb_u32 s5, 0, s51
	v_madmk_f32 v26, v27, 0x4f800000, v26
	v_rcp_f32_e32 v26, v26
	v_mul_f32_e32 v26, 0x5f7ffffc, v26
	v_mul_f32_e32 v27, 0x2f800000, v26
	v_trunc_f32_e32 v27, v27
	v_madmk_f32 v26, v27, 0xcf800000, v26
	v_cvt_u32_f32_e32 v27, v27
	v_cvt_u32_f32_e32 v26, v26
	v_mul_lo_u32 v30, s4, v27
	v_mul_hi_u32 v32, s4, v26
	v_mul_lo_u32 v31, s5, v26
	v_add_u32_e32 v30, v32, v30
	v_mul_lo_u32 v33, s4, v26
	v_add_u32_e32 v30, v30, v31
	v_mul_hi_u32 v32, v26, v33
	v_mul_lo_u32 v34, v26, v30
	v_mul_hi_u32 v31, v26, v30
	v_add_co_u32_e32 v32, vcc, v32, v34
	v_addc_co_u32_e32 v31, vcc, 0, v31, vcc
	v_mul_hi_u32 v35, v27, v33
	v_mul_lo_u32 v33, v27, v33
	v_add_co_u32_e32 v32, vcc, v32, v33
	v_mul_hi_u32 v34, v27, v30
	v_addc_co_u32_e32 v31, vcc, v31, v35, vcc
	v_addc_co_u32_e32 v32, vcc, 0, v34, vcc
	v_mul_lo_u32 v30, v27, v30
	v_add_co_u32_e32 v30, vcc, v31, v30
	v_addc_co_u32_e32 v31, vcc, 0, v32, vcc
	v_add_co_u32_e32 v26, vcc, v26, v30
	v_addc_co_u32_e32 v27, vcc, v27, v31, vcc
	v_mul_lo_u32 v30, s4, v27
	v_mul_hi_u32 v31, s4, v26
	v_add_u32_e32 v30, v31, v30
	v_mul_lo_u32 v31, s5, v26
	v_add_u32_e32 v30, v30, v31
	v_mul_lo_u32 v32, s4, v26
	v_mul_hi_u32 v33, v27, v32
	v_mul_lo_u32 v34, v27, v32
	v_mul_lo_u32 v36, v26, v30
	v_mul_hi_u32 v32, v26, v32
	v_mul_hi_u32 v35, v26, v30
	v_add_co_u32_e32 v32, vcc, v32, v36
	v_addc_co_u32_e32 v35, vcc, 0, v35, vcc
	v_add_co_u32_e32 v32, vcc, v32, v34
	v_mul_hi_u32 v31, v27, v30
	v_addc_co_u32_e32 v32, vcc, v35, v33, vcc
	v_addc_co_u32_e32 v31, vcc, 0, v31, vcc
	v_mul_lo_u32 v30, v27, v30
	v_add_co_u32_e32 v30, vcc, v32, v30
	v_addc_co_u32_e32 v31, vcc, 0, v31, vcc
	v_add_co_u32_e32 v30, vcc, v26, v30
	v_addc_co_u32_e32 v31, vcc, v27, v31, vcc
	v_mad_u64_u32 v[26:27], s[4:5], v28, v31, 0
	v_mul_hi_u32 v32, v28, v30
	v_add_co_u32_e32 v32, vcc, v32, v26
	v_addc_co_u32_e32 v33, vcc, 0, v27, vcc
	v_mad_u64_u32 v[26:27], s[4:5], v29, v31, 0
	v_mad_u64_u32 v[30:31], s[4:5], v29, v30, 0
	v_add_co_u32_e32 v30, vcc, v32, v30
	v_addc_co_u32_e32 v30, vcc, v33, v31, vcc
	v_addc_co_u32_e32 v27, vcc, 0, v27, vcc
	v_add_co_u32_e32 v30, vcc, v30, v26
	v_addc_co_u32_e32 v31, vcc, 0, v27, vcc
	v_mul_lo_u32 v32, s51, v30
	v_mul_lo_u32 v33, s50, v31
	v_mad_u64_u32 v[26:27], s[4:5], s50, v30, 0
	v_add3_u32 v27, v27, v33, v32
	v_sub_u32_e32 v32, v29, v27
	v_mov_b32_e32 v33, s51
	v_sub_co_u32_e32 v26, vcc, v28, v26
	v_subb_co_u32_e64 v28, s[4:5], v32, v33, vcc
	v_subrev_co_u32_e64 v32, s[4:5], s50, v26
	v_subbrev_co_u32_e64 v28, s[4:5], 0, v28, s[4:5]
	v_cmp_le_u32_e64 s[4:5], s51, v28
	v_cndmask_b32_e64 v33, 0, -1, s[4:5]
	v_cmp_le_u32_e64 s[4:5], s50, v32
	v_cndmask_b32_e64 v32, 0, -1, s[4:5]
	v_cmp_eq_u32_e64 s[4:5], s51, v28
	v_cndmask_b32_e64 v28, v33, v32, s[4:5]
	v_add_co_u32_e64 v32, s[4:5], 2, v30
	v_subb_co_u32_e32 v27, vcc, v29, v27, vcc
	v_addc_co_u32_e64 v33, s[4:5], 0, v31, s[4:5]
	v_cmp_le_u32_e32 vcc, s51, v27
	v_add_co_u32_e64 v34, s[4:5], 1, v30
	v_cndmask_b32_e64 v29, 0, -1, vcc
	v_cmp_le_u32_e32 vcc, s50, v26
	v_addc_co_u32_e64 v35, s[4:5], 0, v31, s[4:5]
	v_cndmask_b32_e64 v26, 0, -1, vcc
	v_cmp_eq_u32_e32 vcc, s51, v27
	v_cmp_ne_u32_e64 s[4:5], 0, v28
	v_cndmask_b32_e32 v26, v29, v26, vcc
	v_cndmask_b32_e64 v28, v35, v33, s[4:5]
	v_cmp_ne_u32_e32 vcc, 0, v26
	v_cndmask_b32_e64 v26, v34, v32, s[4:5]
	v_cndmask_b32_e32 v27, v31, v28, vcc
	v_cndmask_b32_e32 v26, v30, v26, vcc
                                        ; implicit-def: $vgpr28
.LBB17_83:
	s_andn2_saveexec_b64 s[4:5], s[40:41]
	s_cbranch_execz .LBB17_85
; %bb.84:
	v_cvt_f32_u32_e32 v26, s50
	s_sub_i32 s40, 0, s50
	v_rcp_iflag_f32_e32 v26, v26
	v_mul_f32_e32 v26, 0x4f7ffffe, v26
	v_cvt_u32_f32_e32 v26, v26
	v_mul_lo_u32 v27, s40, v26
	v_mul_hi_u32 v27, v26, v27
	v_add_u32_e32 v26, v26, v27
	v_mul_hi_u32 v26, v28, v26
	v_mul_lo_u32 v27, v26, s50
	v_sub_u32_e32 v27, v28, v27
	v_add_u32_e32 v29, 1, v26
	v_subrev_u32_e32 v28, s50, v27
	v_cmp_le_u32_e32 vcc, s50, v27
	v_cndmask_b32_e32 v27, v27, v28, vcc
	v_cndmask_b32_e32 v26, v26, v29, vcc
	v_add_u32_e32 v28, 1, v26
	v_cmp_le_u32_e32 vcc, s50, v27
	v_cndmask_b32_e32 v26, v26, v28, vcc
	v_mov_b32_e32 v27, 0
.LBB17_85:
	s_or_b64 exec, exec, s[4:5]
.LBB17_86:
	s_or_b64 exec, exec, s[34:35]
	v_or_b32_e32 v64, 0xd00, v0
	v_cmp_gt_u32_e64 s[34:35], s68, v64
	v_pk_mov_b32 v[28:29], v[54:55], v[54:55] op_sel:[0,1]
	s_and_saveexec_b64 s[40:41], s[34:35]
	s_cbranch_execz .LBB17_92
; %bb.87:
	v_mov_b32_e32 v29, s53
	v_add_co_u32_e32 v30, vcc, s52, v64
	v_addc_co_u32_e32 v31, vcc, 0, v29, vcc
	v_mov_b32_e32 v28, 0
	v_or_b32_e32 v29, s51, v31
	v_cmp_ne_u64_e32 vcc, 0, v[28:29]
                                        ; implicit-def: $vgpr28_vgpr29
	s_and_saveexec_b64 s[4:5], vcc
	s_xor_b64 s[64:65], exec, s[4:5]
	s_cbranch_execz .LBB17_89
; %bb.88:
	v_cvt_f32_u32_e32 v28, s50
	v_cvt_f32_u32_e32 v29, s51
	s_sub_u32 s4, 0, s50
	s_subb_u32 s5, 0, s51
	v_madmk_f32 v28, v29, 0x4f800000, v28
	v_rcp_f32_e32 v28, v28
	v_mul_f32_e32 v28, 0x5f7ffffc, v28
	v_mul_f32_e32 v29, 0x2f800000, v28
	v_trunc_f32_e32 v29, v29
	v_madmk_f32 v28, v29, 0xcf800000, v28
	v_cvt_u32_f32_e32 v29, v29
	v_cvt_u32_f32_e32 v28, v28
	v_mul_lo_u32 v32, s4, v29
	v_mul_hi_u32 v34, s4, v28
	v_mul_lo_u32 v33, s5, v28
	v_add_u32_e32 v32, v34, v32
	v_mul_lo_u32 v35, s4, v28
	v_add_u32_e32 v32, v32, v33
	v_mul_hi_u32 v34, v28, v35
	v_mul_lo_u32 v36, v28, v32
	v_mul_hi_u32 v33, v28, v32
	v_add_co_u32_e32 v34, vcc, v34, v36
	v_addc_co_u32_e32 v33, vcc, 0, v33, vcc
	v_mul_hi_u32 v37, v29, v35
	v_mul_lo_u32 v35, v29, v35
	v_add_co_u32_e32 v34, vcc, v34, v35
	v_mul_hi_u32 v36, v29, v32
	v_addc_co_u32_e32 v33, vcc, v33, v37, vcc
	v_addc_co_u32_e32 v34, vcc, 0, v36, vcc
	v_mul_lo_u32 v32, v29, v32
	v_add_co_u32_e32 v32, vcc, v33, v32
	v_addc_co_u32_e32 v33, vcc, 0, v34, vcc
	v_add_co_u32_e32 v28, vcc, v28, v32
	v_addc_co_u32_e32 v29, vcc, v29, v33, vcc
	v_mul_lo_u32 v32, s4, v29
	v_mul_hi_u32 v33, s4, v28
	v_add_u32_e32 v32, v33, v32
	v_mul_lo_u32 v33, s5, v28
	v_add_u32_e32 v32, v32, v33
	v_mul_lo_u32 v34, s4, v28
	v_mul_hi_u32 v35, v29, v34
	v_mul_lo_u32 v36, v29, v34
	v_mul_lo_u32 v38, v28, v32
	v_mul_hi_u32 v34, v28, v34
	v_mul_hi_u32 v37, v28, v32
	v_add_co_u32_e32 v34, vcc, v34, v38
	v_addc_co_u32_e32 v37, vcc, 0, v37, vcc
	v_add_co_u32_e32 v34, vcc, v34, v36
	v_mul_hi_u32 v33, v29, v32
	v_addc_co_u32_e32 v34, vcc, v37, v35, vcc
	v_addc_co_u32_e32 v33, vcc, 0, v33, vcc
	v_mul_lo_u32 v32, v29, v32
	v_add_co_u32_e32 v32, vcc, v34, v32
	v_addc_co_u32_e32 v33, vcc, 0, v33, vcc
	v_add_co_u32_e32 v32, vcc, v28, v32
	v_addc_co_u32_e32 v33, vcc, v29, v33, vcc
	v_mad_u64_u32 v[28:29], s[4:5], v30, v33, 0
	v_mul_hi_u32 v34, v30, v32
	v_add_co_u32_e32 v34, vcc, v34, v28
	v_addc_co_u32_e32 v35, vcc, 0, v29, vcc
	v_mad_u64_u32 v[28:29], s[4:5], v31, v33, 0
	v_mad_u64_u32 v[32:33], s[4:5], v31, v32, 0
	v_add_co_u32_e32 v32, vcc, v34, v32
	v_addc_co_u32_e32 v32, vcc, v35, v33, vcc
	v_addc_co_u32_e32 v29, vcc, 0, v29, vcc
	v_add_co_u32_e32 v32, vcc, v32, v28
	v_addc_co_u32_e32 v33, vcc, 0, v29, vcc
	v_mul_lo_u32 v34, s51, v32
	v_mul_lo_u32 v35, s50, v33
	v_mad_u64_u32 v[28:29], s[4:5], s50, v32, 0
	v_add3_u32 v29, v29, v35, v34
	v_sub_u32_e32 v34, v31, v29
	v_mov_b32_e32 v35, s51
	v_sub_co_u32_e32 v28, vcc, v30, v28
	v_subb_co_u32_e64 v30, s[4:5], v34, v35, vcc
	v_subrev_co_u32_e64 v34, s[4:5], s50, v28
	v_subbrev_co_u32_e64 v30, s[4:5], 0, v30, s[4:5]
	v_cmp_le_u32_e64 s[4:5], s51, v30
	v_cndmask_b32_e64 v35, 0, -1, s[4:5]
	v_cmp_le_u32_e64 s[4:5], s50, v34
	v_cndmask_b32_e64 v34, 0, -1, s[4:5]
	v_cmp_eq_u32_e64 s[4:5], s51, v30
	v_cndmask_b32_e64 v30, v35, v34, s[4:5]
	v_add_co_u32_e64 v34, s[4:5], 2, v32
	v_subb_co_u32_e32 v29, vcc, v31, v29, vcc
	v_addc_co_u32_e64 v35, s[4:5], 0, v33, s[4:5]
	v_cmp_le_u32_e32 vcc, s51, v29
	v_add_co_u32_e64 v36, s[4:5], 1, v32
	v_cndmask_b32_e64 v31, 0, -1, vcc
	v_cmp_le_u32_e32 vcc, s50, v28
	v_addc_co_u32_e64 v37, s[4:5], 0, v33, s[4:5]
	v_cndmask_b32_e64 v28, 0, -1, vcc
	v_cmp_eq_u32_e32 vcc, s51, v29
	v_cmp_ne_u32_e64 s[4:5], 0, v30
	v_cndmask_b32_e32 v28, v31, v28, vcc
	v_cndmask_b32_e64 v30, v37, v35, s[4:5]
	v_cmp_ne_u32_e32 vcc, 0, v28
	v_cndmask_b32_e64 v28, v36, v34, s[4:5]
	v_cndmask_b32_e32 v29, v33, v30, vcc
	v_cndmask_b32_e32 v28, v32, v28, vcc
                                        ; implicit-def: $vgpr30
.LBB17_89:
	s_andn2_saveexec_b64 s[4:5], s[64:65]
	s_cbranch_execz .LBB17_91
; %bb.90:
	v_cvt_f32_u32_e32 v28, s50
	s_sub_i32 s64, 0, s50
	v_rcp_iflag_f32_e32 v28, v28
	v_mul_f32_e32 v28, 0x4f7ffffe, v28
	v_cvt_u32_f32_e32 v28, v28
	v_mul_lo_u32 v29, s64, v28
	v_mul_hi_u32 v29, v28, v29
	v_add_u32_e32 v28, v28, v29
	v_mul_hi_u32 v28, v30, v28
	v_mul_lo_u32 v29, v28, s50
	v_sub_u32_e32 v29, v30, v29
	v_add_u32_e32 v31, 1, v28
	v_subrev_u32_e32 v30, s50, v29
	v_cmp_le_u32_e32 vcc, s50, v29
	v_cndmask_b32_e32 v29, v29, v30, vcc
	v_cndmask_b32_e32 v28, v28, v31, vcc
	v_add_u32_e32 v30, 1, v28
	v_cmp_le_u32_e32 vcc, s50, v29
	v_cndmask_b32_e32 v28, v28, v30, vcc
	v_mov_b32_e32 v29, 0
.LBB17_91:
	s_or_b64 exec, exec, s[4:5]
.LBB17_92:
	s_or_b64 exec, exec, s[40:41]
	v_lshlrev_b32_e32 v30, 3, v0
	s_movk_i32 s4, 0x68
	ds_write2st64_b64 v30, v[2:3], v[4:5] offset1:4
	ds_write2st64_b64 v30, v[6:7], v[8:9] offset0:8 offset1:12
	ds_write2st64_b64 v30, v[10:11], v[12:13] offset0:16 offset1:20
	;; [unrolled: 1-line block ×6, first 2 shown]
	v_mad_u32_u24 v2, v0, s4, v30
	s_waitcnt lgkmcnt(0)
	s_barrier
	ds_read_b128 v[50:53], v2
	ds_read_b128 v[46:49], v2 offset:16
	ds_read_b128 v[42:45], v2 offset:32
	;; [unrolled: 1-line block ×6, first 2 shown]
	s_cmp_eq_u64 s[62:63], 0
	s_cbranch_scc1 .LBB17_101
; %bb.93:
	s_andn2_b64 vcc, exec, s[54:55]
	s_cbranch_vccnz .LBB17_97
; %bb.94:
	s_lshl_b64 s[4:5], s[62:63], 3
	s_add_u32 s4, s46, s4
	s_addc_u32 s5, s47, s5
	s_add_u32 s4, s4, -8
	s_addc_u32 s5, s5, -1
	s_load_dwordx2 s[4:5], s[4:5], 0x0
	s_waitcnt lgkmcnt(0)
	v_pk_mov_b32 v[54:55], s[4:5], s[4:5] op_sel:[0,1]
	s_cbranch_execz .LBB17_98
	s_branch .LBB17_101
.LBB17_95:
                                        ; implicit-def: $sgpr16_sgpr17
                                        ; implicit-def: $vgpr2_vgpr3_vgpr4_vgpr5_vgpr6_vgpr7_vgpr8_vgpr9
                                        ; implicit-def: $vgpr10_vgpr11_vgpr12_vgpr13_vgpr14_vgpr15_vgpr16_vgpr17
                                        ; implicit-def: $vgpr18_vgpr19_vgpr20_vgpr21_vgpr22_vgpr23_vgpr24_vgpr25
                                        ; implicit-def: $vgpr59
                                        ; implicit-def: $vgpr56_vgpr57
	s_and_b64 vcc, exec, s[12:13]
	s_cbranch_vccnz .LBB17_145
	s_branch .LBB17_229
.LBB17_96:
                                        ; implicit-def: $vgpr54_vgpr55
	s_branch .LBB17_7
.LBB17_97:
                                        ; implicit-def: $sgpr4_sgpr5
	v_pk_mov_b32 v[54:55], s[4:5], s[4:5] op_sel:[0,1]
.LBB17_98:
	s_add_u32 s40, s52, -1
	s_addc_u32 s41, s53, -1
	s_or_b64 s[4:5], s[40:41], s[50:51]
	s_mov_b32 s4, 0
	s_cmp_lg_u64 s[4:5], 0
	s_mov_b64 s[64:65], -1
	s_cbranch_scc0 .LBB17_314
; %bb.99:
	v_cvt_f32_u32_e32 v3, s50
	v_cvt_f32_u32_e32 v4, s51
	s_sub_u32 s4, 0, s50
	s_subb_u32 s5, 0, s51
	v_madmk_f32 v3, v4, 0x4f800000, v3
	v_rcp_f32_e32 v3, v3
	v_mul_f32_e32 v3, 0x5f7ffffc, v3
	v_mul_f32_e32 v4, 0x2f800000, v3
	v_trunc_f32_e32 v4, v4
	v_madmk_f32 v3, v4, 0xcf800000, v3
	v_cvt_u32_f32_e32 v4, v4
	v_cvt_u32_f32_e32 v3, v3
	v_readfirstlane_b32 s69, v4
	v_readfirstlane_b32 s70, v3
	s_mul_i32 s71, s4, s69
	s_mul_hi_u32 s73, s4, s70
	s_mul_i32 s72, s5, s70
	s_add_i32 s71, s73, s71
	s_add_i32 s71, s71, s72
	s_mul_i32 s74, s4, s70
	s_mul_hi_u32 s72, s70, s71
	s_mul_i32 s73, s70, s71
	s_mul_hi_u32 s70, s70, s74
	s_add_u32 s70, s70, s73
	s_addc_u32 s72, 0, s72
	s_mul_hi_u32 s75, s69, s74
	s_mul_i32 s74, s69, s74
	s_add_u32 s70, s70, s74
	s_mul_hi_u32 s73, s69, s71
	s_addc_u32 s70, s72, s75
	s_addc_u32 s72, s73, 0
	s_mul_i32 s71, s69, s71
	s_add_u32 s70, s70, s71
	s_addc_u32 s71, 0, s72
	v_add_co_u32_e32 v3, vcc, s70, v3
	s_cmp_lg_u64 vcc, 0
	s_addc_u32 s69, s69, s71
	v_readfirstlane_b32 s71, v3
	s_mul_i32 s70, s4, s69
	s_mul_hi_u32 s72, s4, s71
	s_add_i32 s70, s72, s70
	s_mul_i32 s5, s5, s71
	s_add_i32 s70, s70, s5
	s_mul_i32 s4, s4, s71
	s_mul_hi_u32 s72, s69, s4
	s_mul_i32 s73, s69, s4
	s_mul_i32 s75, s71, s70
	s_mul_hi_u32 s4, s71, s4
	s_mul_hi_u32 s74, s71, s70
	s_add_u32 s4, s4, s75
	s_addc_u32 s71, 0, s74
	s_add_u32 s4, s4, s73
	s_mul_hi_u32 s5, s69, s70
	s_addc_u32 s4, s71, s72
	s_addc_u32 s5, s5, 0
	s_mul_i32 s70, s69, s70
	s_add_u32 s4, s4, s70
	s_addc_u32 s5, 0, s5
	v_add_co_u32_e32 v3, vcc, s4, v3
	s_cmp_lg_u64 vcc, 0
	s_addc_u32 s4, s69, s5
	v_readfirstlane_b32 s70, v3
	s_mul_i32 s69, s40, s4
	s_mul_hi_u32 s71, s40, s70
	s_mul_hi_u32 s5, s40, s4
	s_add_u32 s69, s71, s69
	s_addc_u32 s5, 0, s5
	s_mul_hi_u32 s72, s41, s70
	s_mul_i32 s70, s41, s70
	s_add_u32 s69, s69, s70
	s_mul_hi_u32 s71, s41, s4
	s_addc_u32 s5, s5, s72
	s_addc_u32 s69, s71, 0
	s_mul_i32 s4, s41, s4
	s_add_u32 s70, s5, s4
	s_addc_u32 s69, 0, s69
	s_mul_i32 s4, s50, s69
	s_mul_hi_u32 s5, s50, s70
	s_add_i32 s4, s5, s4
	s_mul_i32 s5, s51, s70
	s_add_i32 s71, s4, s5
	s_mul_i32 s5, s50, s70
	v_mov_b32_e32 v3, s5
	s_sub_i32 s4, s41, s71
	v_sub_co_u32_e32 v3, vcc, s40, v3
	s_cmp_lg_u64 vcc, 0
	s_subb_u32 s72, s4, s51
	v_subrev_co_u32_e64 v4, s[4:5], s50, v3
	s_cmp_lg_u64 s[4:5], 0
	s_subb_u32 s72, s72, 0
	s_cmp_ge_u32 s72, s51
	s_cselect_b32 s73, -1, 0
	v_cmp_le_u32_e64 s[4:5], s50, v4
	s_cmp_eq_u32 s72, s51
	v_cndmask_b32_e64 v4, 0, -1, s[4:5]
	v_mov_b32_e32 v5, s73
	s_cselect_b64 s[4:5], -1, 0
	v_cndmask_b32_e64 v4, v5, v4, s[4:5]
	s_add_u32 s4, s70, 1
	s_addc_u32 s72, s69, 0
	s_add_u32 s5, s70, 2
	s_addc_u32 s73, s69, 0
	v_mov_b32_e32 v5, s4
	v_mov_b32_e32 v6, s5
	v_cmp_ne_u32_e64 s[4:5], 0, v4
	v_cndmask_b32_e64 v4, v5, v6, s[4:5]
	v_mov_b32_e32 v5, s72
	v_mov_b32_e32 v6, s73
	s_cmp_lg_u64 vcc, 0
	v_cndmask_b32_e64 v5, v5, v6, s[4:5]
	s_subb_u32 s4, s41, s71
	s_cmp_ge_u32 s4, s51
	s_cselect_b32 s5, -1, 0
	v_cmp_le_u32_e32 vcc, s50, v3
	s_cmp_eq_u32 s4, s51
	v_cndmask_b32_e64 v3, 0, -1, vcc
	v_mov_b32_e32 v6, s5
	s_cselect_b64 vcc, -1, 0
	v_cndmask_b32_e32 v3, v6, v3, vcc
	v_mov_b32_e32 v6, s69
	v_cmp_ne_u32_e32 vcc, 0, v3
	v_mov_b32_e32 v3, s70
	v_cndmask_b32_e32 v55, v6, v5, vcc
	v_cndmask_b32_e32 v54, v3, v4, vcc
	s_cbranch_execnz .LBB17_101
.LBB17_100:
	v_cvt_f32_u32_e32 v3, s50
	s_sub_i32 s4, 0, s50
	s_mov_b32 s5, 0
	v_rcp_iflag_f32_e32 v3, v3
	v_mul_f32_e32 v3, 0x4f7ffffe, v3
	v_cvt_u32_f32_e32 v3, v3
	v_readfirstlane_b32 s41, v3
	s_mul_i32 s4, s4, s41
	s_mul_hi_u32 s4, s41, s4
	s_add_i32 s41, s41, s4
	s_mul_hi_u32 s4, s40, s41
	s_mul_i32 s64, s4, s50
	s_sub_i32 s40, s40, s64
	s_add_i32 s41, s4, 1
	s_sub_i32 s64, s40, s50
	s_cmp_ge_u32 s40, s50
	s_cselect_b32 s4, s41, s4
	s_cselect_b32 s40, s64, s40
	s_add_i32 s41, s4, 1
	s_cmp_ge_u32 s40, s50
	s_cselect_b32 s4, s41, s4
	v_pk_mov_b32 v[54:55], s[4:5], s[4:5] op_sel:[0,1]
.LBB17_101:
	s_movk_i32 s4, 0xff98
	v_mad_i32_i24 v2, v0, s4, v2
	s_waitcnt lgkmcnt(0)
	ds_write_b64 v2, v[32:33] offset:28672
	s_waitcnt lgkmcnt(0)
	s_barrier
	s_and_saveexec_b64 s[4:5], s[36:37]
	s_cbranch_execz .LBB17_103
; %bb.102:
	ds_read_b64 v[54:55], v2 offset:28664
.LBB17_103:
	s_or_b64 exec, exec, s[4:5]
	s_waitcnt lgkmcnt(0)
	s_barrier
	s_waitcnt lgkmcnt(0)
                                        ; implicit-def: $vgpr3
	s_and_saveexec_b64 s[4:5], s[6:7]
	s_cbranch_execnz .LBB17_204
; %bb.104:
	s_or_b64 exec, exec, s[4:5]
                                        ; implicit-def: $vgpr4
	s_and_saveexec_b64 s[4:5], s[8:9]
	s_cbranch_execnz .LBB17_205
.LBB17_105:
	s_or_b64 exec, exec, s[4:5]
                                        ; implicit-def: $vgpr5
	s_and_saveexec_b64 s[4:5], s[10:11]
	s_cbranch_execnz .LBB17_206
.LBB17_106:
	s_or_b64 exec, exec, s[4:5]
                                        ; implicit-def: $vgpr6
	s_and_saveexec_b64 s[4:5], s[12:13]
	s_cbranch_execnz .LBB17_207
.LBB17_107:
	s_or_b64 exec, exec, s[4:5]
                                        ; implicit-def: $vgpr7
	s_and_saveexec_b64 s[4:5], s[14:15]
	s_cbranch_execnz .LBB17_208
.LBB17_108:
	s_or_b64 exec, exec, s[4:5]
                                        ; implicit-def: $vgpr8
	s_and_saveexec_b64 s[4:5], s[16:17]
	s_cbranch_execnz .LBB17_209
.LBB17_109:
	s_or_b64 exec, exec, s[4:5]
                                        ; implicit-def: $vgpr9
	s_and_saveexec_b64 s[4:5], s[18:19]
	s_cbranch_execnz .LBB17_210
.LBB17_110:
	s_or_b64 exec, exec, s[4:5]
                                        ; implicit-def: $vgpr10
	s_and_saveexec_b64 s[4:5], s[20:21]
	s_cbranch_execnz .LBB17_211
.LBB17_111:
	s_or_b64 exec, exec, s[4:5]
                                        ; implicit-def: $vgpr11
	s_and_saveexec_b64 s[4:5], s[22:23]
	s_cbranch_execnz .LBB17_212
.LBB17_112:
	s_or_b64 exec, exec, s[4:5]
                                        ; implicit-def: $vgpr12
	s_and_saveexec_b64 s[4:5], s[24:25]
	s_cbranch_execnz .LBB17_213
.LBB17_113:
	s_or_b64 exec, exec, s[4:5]
                                        ; implicit-def: $vgpr13
	s_and_saveexec_b64 s[4:5], s[26:27]
	s_cbranch_execnz .LBB17_214
.LBB17_114:
	s_or_b64 exec, exec, s[4:5]
                                        ; implicit-def: $vgpr14
	s_and_saveexec_b64 s[4:5], s[28:29]
	s_cbranch_execnz .LBB17_215
.LBB17_115:
	s_or_b64 exec, exec, s[4:5]
                                        ; implicit-def: $vgpr15
	s_and_saveexec_b64 s[4:5], s[30:31]
	s_cbranch_execnz .LBB17_216
.LBB17_116:
	s_or_b64 exec, exec, s[4:5]
                                        ; implicit-def: $vgpr16
	s_and_saveexec_b64 s[4:5], s[34:35]
	s_cbranch_execz .LBB17_118
.LBB17_117:
	v_lshlrev_b32_e32 v1, 2, v64
	v_mov_b32_e32 v17, s67
	v_add_co_u32_e32 v16, vcc, s66, v1
	v_addc_co_u32_e32 v17, vcc, 0, v17, vcc
	flat_load_dword v16, v[16:17]
.LBB17_118:
	s_or_b64 exec, exec, s[4:5]
	v_lshlrev_b32_e32 v17, 2, v0
	s_mov_b32 s4, 0
	v_sub_u32_e32 v58, v2, v17
	s_mov_b32 s5, s4
	s_waitcnt vmcnt(0) lgkmcnt(0)
	ds_write2st64_b32 v58, v3, v4 offset1:4
	ds_write2st64_b32 v58, v5, v6 offset0:8 offset1:12
	ds_write2st64_b32 v58, v7, v8 offset0:16 offset1:20
	;; [unrolled: 1-line block ×6, first 2 shown]
	s_mov_b32 s6, s4
	s_mov_b32 s7, s4
	;; [unrolled: 1-line block ×6, first 2 shown]
	v_pk_mov_b32 v[2:3], s[4:5], s[4:5] op_sel:[0,1]
	v_pk_mov_b32 v[8:9], s[10:11], s[10:11] op_sel:[0,1]
	v_mul_u32_u24_e32 v1, 14, v0
	v_pk_mov_b32 v[4:5], s[6:7], s[6:7] op_sel:[0,1]
	v_pk_mov_b32 v[6:7], s[8:9], s[8:9] op_sel:[0,1]
	v_pk_mov_b32 v[16:17], v[8:9], v[8:9] op_sel:[0,1]
	v_pk_mov_b32 v[24:25], v[8:9], v[8:9] op_sel:[0,1]
	v_cmp_gt_u32_e32 vcc, s68, v1
	s_mov_b64 s[12:13], 0
	v_pk_mov_b32 v[56:57], 0, 0
	s_mov_b64 s[18:19], 0
	v_pk_mov_b32 v[14:15], v[6:7], v[6:7] op_sel:[0,1]
	v_pk_mov_b32 v[12:13], v[4:5], v[4:5] op_sel:[0,1]
	;; [unrolled: 1-line block ×6, first 2 shown]
	s_waitcnt lgkmcnt(0)
	s_barrier
	s_waitcnt lgkmcnt(0)
                                        ; implicit-def: $sgpr16_sgpr17
                                        ; implicit-def: $vgpr59
	s_and_saveexec_b64 s[14:15], vcc
	s_cbranch_execz .LBB17_144
; %bb.119:
	v_mad_u32_u24 v3, v0, 52, v58
	v_or_b32_e32 v2, 1, v1
	ds_read_b32 v56, v3
	v_cmp_ne_u64_e32 vcc, v[54:55], v[50:51]
	v_cndmask_b32_e64 v57, 0, 1, vcc
	v_cmp_gt_u32_e32 vcc, s68, v2
	v_pk_mov_b32 v[2:3], s[4:5], s[4:5] op_sel:[0,1]
	v_pk_mov_b32 v[8:9], s[10:11], s[10:11] op_sel:[0,1]
	;; [unrolled: 1-line block ×12, first 2 shown]
                                        ; implicit-def: $sgpr4_sgpr5
                                        ; implicit-def: $vgpr59
	s_and_saveexec_b64 s[16:17], vcc
	s_cbranch_execz .LBB17_143
; %bb.120:
	v_mul_u32_u24_e32 v2, 52, v0
	v_add_u32_e32 v58, v58, v2
	ds_read2_b32 v[54:55], v58 offset0:1 offset1:2
	s_mov_b32 s4, 0
	s_mov_b32 s10, s4
	;; [unrolled: 1-line block ×8, first 2 shown]
	v_pk_mov_b32 v[16:17], s[10:11], s[10:11] op_sel:[0,1]
	v_add_u32_e32 v2, 2, v1
	v_cmp_ne_u64_e32 vcc, v[50:51], v[52:53]
	v_mov_b32_e32 v6, 0
	v_pk_mov_b32 v[14:15], s[8:9], s[8:9] op_sel:[0,1]
	v_pk_mov_b32 v[12:13], s[6:7], s[6:7] op_sel:[0,1]
	;; [unrolled: 1-line block ×4, first 2 shown]
	v_cndmask_b32_e64 v3, 0, 1, vcc
	v_cmp_gt_u32_e32 vcc, s68, v2
	s_waitcnt lgkmcnt(0)
	v_mov_b32_e32 v2, v54
	v_mov_b32_e32 v4, v6
	;; [unrolled: 1-line block ×6, first 2 shown]
	s_mov_b64 s[20:21], 0
	v_pk_mov_b32 v[22:23], v[14:15], v[14:15] op_sel:[0,1]
	v_pk_mov_b32 v[20:21], v[12:13], v[12:13] op_sel:[0,1]
	;; [unrolled: 1-line block ×3, first 2 shown]
                                        ; implicit-def: $sgpr24_sgpr25
                                        ; implicit-def: $vgpr59
	s_and_saveexec_b64 s[18:19], vcc
	s_cbranch_execz .LBB17_142
; %bb.121:
	v_pk_mov_b32 v[16:17], s[10:11], s[10:11] op_sel:[0,1]
	v_add_u32_e32 v2, 3, v1
	v_cmp_ne_u64_e32 vcc, v[52:53], v[46:47]
	v_pk_mov_b32 v[14:15], s[8:9], s[8:9] op_sel:[0,1]
	v_pk_mov_b32 v[12:13], s[6:7], s[6:7] op_sel:[0,1]
	;; [unrolled: 1-line block ×4, first 2 shown]
	v_cndmask_b32_e64 v5, 0, 1, vcc
	v_cmp_gt_u32_e32 vcc, s68, v2
	v_mov_b32_e32 v2, v54
	v_mov_b32_e32 v4, v55
	;; [unrolled: 1-line block ×5, first 2 shown]
	s_mov_b64 s[22:23], 0
	v_pk_mov_b32 v[22:23], v[14:15], v[14:15] op_sel:[0,1]
	v_pk_mov_b32 v[20:21], v[12:13], v[12:13] op_sel:[0,1]
	v_pk_mov_b32 v[18:19], v[10:11], v[10:11] op_sel:[0,1]
                                        ; implicit-def: $sgpr4_sgpr5
                                        ; implicit-def: $vgpr59
	s_and_saveexec_b64 s[20:21], vcc
	s_cbranch_execz .LBB17_141
; %bb.122:
	ds_read2_b32 v[50:51], v58 offset0:3 offset1:4
	s_mov_b32 s4, 0
	s_mov_b32 s10, s4
	;; [unrolled: 1-line block ×8, first 2 shown]
	v_pk_mov_b32 v[16:17], s[10:11], s[10:11] op_sel:[0,1]
	v_add_u32_e32 v6, 4, v1
	v_cmp_ne_u64_e32 vcc, v[46:47], v[48:49]
	v_pk_mov_b32 v[14:15], s[8:9], s[8:9] op_sel:[0,1]
	v_pk_mov_b32 v[12:13], s[6:7], s[6:7] op_sel:[0,1]
	;; [unrolled: 1-line block ×4, first 2 shown]
	v_cndmask_b32_e64 v7, 0, 1, vcc
	v_cmp_gt_u32_e32 vcc, s68, v6
	s_waitcnt lgkmcnt(0)
	v_mov_b32_e32 v6, v50
	v_mov_b32_e32 v8, s4
	;; [unrolled: 1-line block ×3, first 2 shown]
	s_mov_b64 s[24:25], 0
	v_pk_mov_b32 v[22:23], v[14:15], v[14:15] op_sel:[0,1]
	v_pk_mov_b32 v[20:21], v[12:13], v[12:13] op_sel:[0,1]
	;; [unrolled: 1-line block ×3, first 2 shown]
                                        ; implicit-def: $sgpr26_sgpr27
                                        ; implicit-def: $vgpr59
	s_and_saveexec_b64 s[22:23], vcc
	s_cbranch_execz .LBB17_140
; %bb.123:
	v_pk_mov_b32 v[16:17], s[10:11], s[10:11] op_sel:[0,1]
	v_add_u32_e32 v8, 5, v1
	v_cmp_ne_u64_e32 vcc, v[48:49], v[42:43]
	v_pk_mov_b32 v[14:15], s[8:9], s[8:9] op_sel:[0,1]
	v_pk_mov_b32 v[12:13], s[6:7], s[6:7] op_sel:[0,1]
	;; [unrolled: 1-line block ×4, first 2 shown]
	v_cndmask_b32_e64 v9, 0, 1, vcc
	v_cmp_gt_u32_e32 vcc, s68, v8
	v_mov_b32_e32 v8, v51
	s_mov_b64 s[28:29], 0
	v_pk_mov_b32 v[22:23], v[14:15], v[14:15] op_sel:[0,1]
	v_pk_mov_b32 v[20:21], v[12:13], v[12:13] op_sel:[0,1]
	;; [unrolled: 1-line block ×3, first 2 shown]
                                        ; implicit-def: $sgpr4_sgpr5
                                        ; implicit-def: $vgpr59
	s_and_saveexec_b64 s[24:25], vcc
	s_cbranch_execz .LBB17_139
; %bb.124:
	ds_read2_b32 v[46:47], v58 offset0:5 offset1:6
	s_mov_b32 s4, 0
	s_mov_b32 s10, s4
	s_mov_b32 s11, s4
	v_add_u32_e32 v10, 6, v1
	v_cmp_ne_u64_e32 vcc, v[42:43], v[44:45]
	v_mov_b32_e32 v14, 0
	s_mov_b32 s5, s4
	s_mov_b32 s6, s4
	;; [unrolled: 1-line block ×5, first 2 shown]
	v_pk_mov_b32 v[24:25], s[10:11], s[10:11] op_sel:[0,1]
	v_cndmask_b32_e64 v11, 0, 1, vcc
	v_cmp_gt_u32_e32 vcc, s68, v10
	s_waitcnt lgkmcnt(0)
	v_mov_b32_e32 v10, v46
	v_mov_b32_e32 v12, v14
	;; [unrolled: 1-line block ×6, first 2 shown]
	v_pk_mov_b32 v[22:23], s[8:9], s[8:9] op_sel:[0,1]
	v_pk_mov_b32 v[20:21], s[6:7], s[6:7] op_sel:[0,1]
	;; [unrolled: 1-line block ×3, first 2 shown]
                                        ; implicit-def: $sgpr34_sgpr35
                                        ; implicit-def: $vgpr59
	s_and_saveexec_b64 s[26:27], vcc
	s_cbranch_execz .LBB17_138
; %bb.125:
	v_add_u32_e32 v10, 7, v1
	v_cmp_ne_u64_e32 vcc, v[44:45], v[38:39]
	v_pk_mov_b32 v[24:25], s[10:11], s[10:11] op_sel:[0,1]
	v_cndmask_b32_e64 v13, 0, 1, vcc
	v_cmp_gt_u32_e32 vcc, s68, v10
	v_mov_b32_e32 v10, v46
	v_mov_b32_e32 v12, v47
	;; [unrolled: 1-line block ×5, first 2 shown]
	s_mov_b64 s[30:31], 0
	v_pk_mov_b32 v[22:23], s[8:9], s[8:9] op_sel:[0,1]
	v_pk_mov_b32 v[20:21], s[6:7], s[6:7] op_sel:[0,1]
	v_pk_mov_b32 v[18:19], s[4:5], s[4:5] op_sel:[0,1]
                                        ; implicit-def: $sgpr4_sgpr5
                                        ; implicit-def: $vgpr59
	s_and_saveexec_b64 s[28:29], vcc
	s_cbranch_execz .LBB17_137
; %bb.126:
	ds_read2_b32 v[42:43], v58 offset0:7 offset1:8
	s_mov_b32 s4, 0
	s_mov_b32 s10, s4
	;; [unrolled: 1-line block ×3, first 2 shown]
	v_add_u32_e32 v14, 8, v1
	v_cmp_ne_u64_e32 vcc, v[38:39], v[40:41]
	s_mov_b32 s5, s4
	s_mov_b32 s6, s4
	;; [unrolled: 1-line block ×5, first 2 shown]
	v_pk_mov_b32 v[24:25], s[10:11], s[10:11] op_sel:[0,1]
	v_cndmask_b32_e64 v15, 0, 1, vcc
	v_cmp_gt_u32_e32 vcc, s68, v14
	s_waitcnt lgkmcnt(0)
	v_mov_b32_e32 v14, v42
	v_mov_b32_e32 v16, s4
	;; [unrolled: 1-line block ×3, first 2 shown]
	s_mov_b64 s[34:35], 0
	v_pk_mov_b32 v[22:23], s[8:9], s[8:9] op_sel:[0,1]
	v_pk_mov_b32 v[20:21], s[6:7], s[6:7] op_sel:[0,1]
	;; [unrolled: 1-line block ×3, first 2 shown]
                                        ; implicit-def: $sgpr40_sgpr41
                                        ; implicit-def: $vgpr59
	s_and_saveexec_b64 s[30:31], vcc
	s_cbranch_execz .LBB17_136
; %bb.127:
	v_add_u32_e32 v16, 9, v1
	v_cmp_ne_u64_e32 vcc, v[40:41], v[34:35]
	v_pk_mov_b32 v[24:25], s[10:11], s[10:11] op_sel:[0,1]
	v_cndmask_b32_e64 v17, 0, 1, vcc
	v_cmp_gt_u32_e32 vcc, s68, v16
	v_mov_b32_e32 v16, v43
	v_pk_mov_b32 v[22:23], s[8:9], s[8:9] op_sel:[0,1]
	v_pk_mov_b32 v[20:21], s[6:7], s[6:7] op_sel:[0,1]
	v_pk_mov_b32 v[18:19], s[4:5], s[4:5] op_sel:[0,1]
                                        ; implicit-def: $sgpr8_sgpr9
                                        ; implicit-def: $vgpr59
	s_and_saveexec_b64 s[6:7], vcc
	s_cbranch_execz .LBB17_135
; %bb.128:
	ds_read2_b32 v[38:39], v58 offset0:9 offset1:10
	v_add_u32_e32 v18, 10, v1
	v_cmp_ne_u64_e32 vcc, v[34:35], v[36:37]
	v_mov_b32_e32 v22, 0
	v_cndmask_b32_e64 v19, 0, 1, vcc
	v_cmp_gt_u32_e32 vcc, s68, v18
	s_waitcnt lgkmcnt(0)
	v_mov_b32_e32 v18, v38
	v_mov_b32_e32 v20, v22
	;; [unrolled: 1-line block ×6, first 2 shown]
	s_mov_b64 s[4:5], 0
                                        ; implicit-def: $sgpr10_sgpr11
                                        ; implicit-def: $vgpr59
	s_and_saveexec_b64 s[8:9], vcc
	s_cbranch_execz .LBB17_134
; %bb.129:
	v_add_u32_e32 v18, 11, v1
	v_cmp_ne_u64_e32 vcc, v[36:37], v[26:27]
	v_cndmask_b32_e64 v21, 0, 1, vcc
	v_cmp_gt_u32_e32 vcc, s68, v18
	s_mov_b32 s40, 0
	v_mov_b32_e32 v18, v38
	v_mov_b32_e32 v20, v39
	;; [unrolled: 1-line block ×5, first 2 shown]
                                        ; implicit-def: $sgpr34_sgpr35
                                        ; implicit-def: $vgpr59
	s_and_saveexec_b64 s[10:11], vcc
	s_cbranch_execz .LBB17_133
; %bb.130:
	ds_read2_b32 v[34:35], v58 offset0:11 offset1:12
	v_add_u32_e32 v22, 12, v1
	v_cmp_ne_u64_e32 vcc, v[26:27], v[28:29]
	v_cndmask_b32_e64 v23, 0, 1, vcc
	v_cmp_gt_u32_e32 vcc, s68, v22
	s_waitcnt lgkmcnt(0)
	v_mov_b32_e32 v22, v34
	v_mov_b32_e32 v24, s40
	v_mov_b32_e32 v25, s40
                                        ; implicit-def: $sgpr34_sgpr35
                                        ; implicit-def: $vgpr59
	s_and_saveexec_b64 s[40:41], vcc
	s_xor_b64 s[40:41], exec, s[40:41]
	s_cbranch_execz .LBB17_132
; %bb.131:
	ds_read_b32 v59, v58 offset:52
	v_add_u32_e32 v1, 13, v1
	v_cmp_ne_u64_e64 s[4:5], v[28:29], v[30:31]
	v_cmp_ne_u64_e32 vcc, v[30:31], v[32:33]
	v_cndmask_b32_e64 v25, 0, 1, s[4:5]
	v_cmp_gt_u32_e64 s[4:5], s68, v1
	v_mov_b32_e32 v24, v35
	s_and_b64 s[34:35], vcc, exec
	s_and_b64 s[4:5], s[4:5], exec
.LBB17_132:
	s_or_b64 exec, exec, s[40:41]
	s_and_b64 s[34:35], s[34:35], exec
	s_and_b64 s[4:5], s[4:5], exec
.LBB17_133:
	s_or_b64 exec, exec, s[10:11]
	s_and_b64 s[10:11], s[34:35], exec
	s_and_b64 s[4:5], s[4:5], exec
.LBB17_134:
	s_or_b64 exec, exec, s[8:9]
	s_and_b64 s[8:9], s[10:11], exec
	s_and_b64 s[34:35], s[4:5], exec
.LBB17_135:
	s_or_b64 exec, exec, s[6:7]
	s_and_b64 s[40:41], s[8:9], exec
	s_and_b64 s[34:35], s[34:35], exec
.LBB17_136:
	s_or_b64 exec, exec, s[30:31]
	s_and_b64 s[4:5], s[40:41], exec
	s_and_b64 s[30:31], s[34:35], exec
.LBB17_137:
	s_or_b64 exec, exec, s[28:29]
	s_and_b64 s[34:35], s[4:5], exec
	s_and_b64 s[28:29], s[30:31], exec
.LBB17_138:
	s_or_b64 exec, exec, s[26:27]
	s_and_b64 s[4:5], s[34:35], exec
	s_and_b64 s[28:29], s[28:29], exec
.LBB17_139:
	s_or_b64 exec, exec, s[24:25]
	s_and_b64 s[26:27], s[4:5], exec
	s_and_b64 s[24:25], s[28:29], exec
.LBB17_140:
	s_or_b64 exec, exec, s[22:23]
	s_and_b64 s[4:5], s[26:27], exec
	s_and_b64 s[22:23], s[24:25], exec
.LBB17_141:
	s_or_b64 exec, exec, s[20:21]
	s_and_b64 s[24:25], s[4:5], exec
	s_and_b64 s[20:21], s[22:23], exec
.LBB17_142:
	s_or_b64 exec, exec, s[18:19]
	s_and_b64 s[4:5], s[24:25], exec
	s_and_b64 s[18:19], s[20:21], exec
.LBB17_143:
	s_or_b64 exec, exec, s[16:17]
	s_and_b64 s[16:17], s[4:5], exec
	s_and_b64 s[18:19], s[18:19], exec
.LBB17_144:
	s_or_b64 exec, exec, s[14:15]
	s_and_b64 vcc, exec, s[12:13]
	s_cbranch_vccz .LBB17_229
.LBB17_145:
	v_mov_b32_e32 v1, s53
	v_add_co_u32_e32 v28, vcc, s52, v0
	v_addc_co_u32_e32 v1, vcc, 0, v1, vcc
	v_mov_b32_e32 v2, 0
	v_or_b32_e32 v3, s51, v1
	v_cmp_ne_u64_e32 vcc, 0, v[2:3]
                                        ; implicit-def: $vgpr2_vgpr3
	s_and_saveexec_b64 s[4:5], vcc
	s_xor_b64 s[6:7], exec, s[4:5]
	s_cbranch_execz .LBB17_147
; %bb.146:
	v_cvt_f32_u32_e32 v2, s50
	v_cvt_f32_u32_e32 v3, s51
	s_sub_u32 s4, 0, s50
	s_subb_u32 s5, 0, s51
	v_madmk_f32 v2, v3, 0x4f800000, v2
	v_rcp_f32_e32 v2, v2
	v_mul_f32_e32 v2, 0x5f7ffffc, v2
	v_mul_f32_e32 v3, 0x2f800000, v2
	v_trunc_f32_e32 v3, v3
	v_madmk_f32 v2, v3, 0xcf800000, v2
	v_cvt_u32_f32_e32 v3, v3
	v_cvt_u32_f32_e32 v2, v2
	v_mul_lo_u32 v4, s4, v3
	v_mul_hi_u32 v6, s4, v2
	v_mul_lo_u32 v5, s5, v2
	v_add_u32_e32 v4, v6, v4
	v_mul_lo_u32 v7, s4, v2
	v_add_u32_e32 v4, v4, v5
	v_mul_hi_u32 v6, v2, v7
	v_mul_lo_u32 v8, v2, v4
	v_mul_hi_u32 v5, v2, v4
	v_add_co_u32_e32 v6, vcc, v6, v8
	v_addc_co_u32_e32 v5, vcc, 0, v5, vcc
	v_mul_hi_u32 v9, v3, v7
	v_mul_lo_u32 v7, v3, v7
	v_add_co_u32_e32 v6, vcc, v6, v7
	v_mul_hi_u32 v8, v3, v4
	v_addc_co_u32_e32 v5, vcc, v5, v9, vcc
	v_addc_co_u32_e32 v6, vcc, 0, v8, vcc
	v_mul_lo_u32 v4, v3, v4
	v_add_co_u32_e32 v4, vcc, v5, v4
	v_addc_co_u32_e32 v5, vcc, 0, v6, vcc
	v_add_co_u32_e32 v2, vcc, v2, v4
	v_addc_co_u32_e32 v3, vcc, v3, v5, vcc
	v_mul_lo_u32 v4, s4, v3
	v_mul_hi_u32 v5, s4, v2
	v_add_u32_e32 v4, v5, v4
	v_mul_lo_u32 v5, s5, v2
	v_add_u32_e32 v4, v4, v5
	v_mul_lo_u32 v6, s4, v2
	v_mul_hi_u32 v7, v3, v6
	v_mul_lo_u32 v8, v3, v6
	v_mul_lo_u32 v10, v2, v4
	v_mul_hi_u32 v6, v2, v6
	v_mul_hi_u32 v9, v2, v4
	v_add_co_u32_e32 v6, vcc, v6, v10
	v_addc_co_u32_e32 v9, vcc, 0, v9, vcc
	v_add_co_u32_e32 v6, vcc, v6, v8
	v_mul_hi_u32 v5, v3, v4
	v_addc_co_u32_e32 v6, vcc, v9, v7, vcc
	v_addc_co_u32_e32 v5, vcc, 0, v5, vcc
	v_mul_lo_u32 v4, v3, v4
	v_add_co_u32_e32 v4, vcc, v6, v4
	v_addc_co_u32_e32 v5, vcc, 0, v5, vcc
	v_add_co_u32_e32 v4, vcc, v2, v4
	v_addc_co_u32_e32 v5, vcc, v3, v5, vcc
	v_mad_u64_u32 v[2:3], s[4:5], v28, v5, 0
	v_mul_hi_u32 v6, v28, v4
	v_add_co_u32_e32 v6, vcc, v6, v2
	v_addc_co_u32_e32 v7, vcc, 0, v3, vcc
	v_mad_u64_u32 v[2:3], s[4:5], v1, v5, 0
	v_mad_u64_u32 v[4:5], s[4:5], v1, v4, 0
	v_add_co_u32_e32 v4, vcc, v6, v4
	v_addc_co_u32_e32 v4, vcc, v7, v5, vcc
	v_addc_co_u32_e32 v3, vcc, 0, v3, vcc
	v_add_co_u32_e32 v4, vcc, v4, v2
	v_addc_co_u32_e32 v5, vcc, 0, v3, vcc
	v_mul_lo_u32 v6, s51, v4
	v_mul_lo_u32 v7, s50, v5
	v_mad_u64_u32 v[2:3], s[4:5], s50, v4, 0
	v_add3_u32 v3, v3, v7, v6
	v_sub_u32_e32 v6, v1, v3
	v_mov_b32_e32 v7, s51
	v_sub_co_u32_e32 v2, vcc, v28, v2
	v_subb_co_u32_e64 v6, s[4:5], v6, v7, vcc
	v_subrev_co_u32_e64 v7, s[4:5], s50, v2
	v_subbrev_co_u32_e64 v6, s[4:5], 0, v6, s[4:5]
	v_cmp_le_u32_e64 s[4:5], s51, v6
	v_cndmask_b32_e64 v8, 0, -1, s[4:5]
	v_cmp_le_u32_e64 s[4:5], s50, v7
	v_cndmask_b32_e64 v7, 0, -1, s[4:5]
	v_cmp_eq_u32_e64 s[4:5], s51, v6
	v_cndmask_b32_e64 v6, v8, v7, s[4:5]
	v_add_co_u32_e64 v7, s[4:5], 2, v4
	v_addc_co_u32_e64 v8, s[4:5], 0, v5, s[4:5]
	v_add_co_u32_e64 v9, s[4:5], 1, v4
	v_addc_co_u32_e64 v10, s[4:5], 0, v5, s[4:5]
	v_subb_co_u32_e32 v3, vcc, v1, v3, vcc
	v_cmp_ne_u32_e64 s[4:5], 0, v6
	v_cmp_le_u32_e32 vcc, s51, v3
	v_cndmask_b32_e64 v6, v10, v8, s[4:5]
	v_cndmask_b32_e64 v8, 0, -1, vcc
	v_cmp_le_u32_e32 vcc, s50, v2
	v_cndmask_b32_e64 v2, 0, -1, vcc
	v_cmp_eq_u32_e32 vcc, s51, v3
	v_cndmask_b32_e32 v2, v8, v2, vcc
	v_cmp_ne_u32_e32 vcc, 0, v2
	v_cndmask_b32_e64 v2, v9, v7, s[4:5]
	v_cndmask_b32_e32 v3, v5, v6, vcc
	v_cndmask_b32_e32 v2, v4, v2, vcc
.LBB17_147:
	s_andn2_saveexec_b64 s[4:5], s[6:7]
	s_cbranch_execz .LBB17_149
; %bb.148:
	v_cvt_f32_u32_e32 v2, s50
	s_sub_i32 s6, 0, s50
	v_rcp_iflag_f32_e32 v2, v2
	v_mul_f32_e32 v2, 0x4f7ffffe, v2
	v_cvt_u32_f32_e32 v2, v2
	v_mul_lo_u32 v3, s6, v2
	v_mul_hi_u32 v3, v2, v3
	v_add_u32_e32 v2, v2, v3
	v_mul_hi_u32 v2, v28, v2
	v_mul_lo_u32 v3, v2, s50
	v_sub_u32_e32 v3, v28, v3
	v_add_u32_e32 v4, 1, v2
	v_subrev_u32_e32 v5, s50, v3
	v_cmp_le_u32_e32 vcc, s50, v3
	v_cndmask_b32_e32 v3, v3, v5, vcc
	v_cndmask_b32_e32 v2, v2, v4, vcc
	v_add_u32_e32 v4, 1, v2
	v_cmp_le_u32_e32 vcc, s50, v3
	v_cndmask_b32_e32 v2, v2, v4, vcc
	v_mov_b32_e32 v3, 0
.LBB17_149:
	s_or_b64 exec, exec, s[4:5]
	v_add_co_u32_e32 v6, vcc, 0x100, v28
	v_addc_co_u32_e32 v7, vcc, 0, v1, vcc
	v_or_b32_e32 v5, s51, v7
	v_mov_b32_e32 v4, 0
	v_cmp_ne_u64_e32 vcc, 0, v[4:5]
                                        ; implicit-def: $vgpr4_vgpr5
	s_and_saveexec_b64 s[4:5], vcc
	s_xor_b64 s[6:7], exec, s[4:5]
	s_cbranch_execz .LBB17_151
; %bb.150:
	v_cvt_f32_u32_e32 v4, s50
	v_cvt_f32_u32_e32 v5, s51
	s_sub_u32 s4, 0, s50
	s_subb_u32 s5, 0, s51
	v_madmk_f32 v4, v5, 0x4f800000, v4
	v_rcp_f32_e32 v4, v4
	v_mul_f32_e32 v4, 0x5f7ffffc, v4
	v_mul_f32_e32 v5, 0x2f800000, v4
	v_trunc_f32_e32 v5, v5
	v_madmk_f32 v4, v5, 0xcf800000, v4
	v_cvt_u32_f32_e32 v5, v5
	v_cvt_u32_f32_e32 v4, v4
	v_mul_lo_u32 v8, s4, v5
	v_mul_hi_u32 v10, s4, v4
	v_mul_lo_u32 v9, s5, v4
	v_add_u32_e32 v8, v10, v8
	v_mul_lo_u32 v11, s4, v4
	v_add_u32_e32 v8, v8, v9
	v_mul_hi_u32 v10, v4, v11
	v_mul_lo_u32 v12, v4, v8
	v_mul_hi_u32 v9, v4, v8
	v_add_co_u32_e32 v10, vcc, v10, v12
	v_addc_co_u32_e32 v9, vcc, 0, v9, vcc
	v_mul_hi_u32 v13, v5, v11
	v_mul_lo_u32 v11, v5, v11
	v_add_co_u32_e32 v10, vcc, v10, v11
	v_mul_hi_u32 v12, v5, v8
	v_addc_co_u32_e32 v9, vcc, v9, v13, vcc
	v_addc_co_u32_e32 v10, vcc, 0, v12, vcc
	v_mul_lo_u32 v8, v5, v8
	v_add_co_u32_e32 v8, vcc, v9, v8
	v_addc_co_u32_e32 v9, vcc, 0, v10, vcc
	v_add_co_u32_e32 v4, vcc, v4, v8
	v_addc_co_u32_e32 v5, vcc, v5, v9, vcc
	v_mul_lo_u32 v8, s4, v5
	v_mul_hi_u32 v9, s4, v4
	v_add_u32_e32 v8, v9, v8
	v_mul_lo_u32 v9, s5, v4
	v_add_u32_e32 v8, v8, v9
	v_mul_lo_u32 v10, s4, v4
	v_mul_hi_u32 v11, v5, v10
	v_mul_lo_u32 v12, v5, v10
	v_mul_lo_u32 v14, v4, v8
	v_mul_hi_u32 v10, v4, v10
	v_mul_hi_u32 v13, v4, v8
	v_add_co_u32_e32 v10, vcc, v10, v14
	v_addc_co_u32_e32 v13, vcc, 0, v13, vcc
	v_add_co_u32_e32 v10, vcc, v10, v12
	v_mul_hi_u32 v9, v5, v8
	v_addc_co_u32_e32 v10, vcc, v13, v11, vcc
	v_addc_co_u32_e32 v9, vcc, 0, v9, vcc
	v_mul_lo_u32 v8, v5, v8
	v_add_co_u32_e32 v8, vcc, v10, v8
	v_addc_co_u32_e32 v9, vcc, 0, v9, vcc
	v_add_co_u32_e32 v8, vcc, v4, v8
	v_addc_co_u32_e32 v9, vcc, v5, v9, vcc
	v_mad_u64_u32 v[4:5], s[4:5], v6, v9, 0
	v_mul_hi_u32 v10, v6, v8
	v_add_co_u32_e32 v10, vcc, v10, v4
	v_addc_co_u32_e32 v11, vcc, 0, v5, vcc
	v_mad_u64_u32 v[4:5], s[4:5], v7, v9, 0
	v_mad_u64_u32 v[8:9], s[4:5], v7, v8, 0
	v_add_co_u32_e32 v8, vcc, v10, v8
	v_addc_co_u32_e32 v8, vcc, v11, v9, vcc
	v_addc_co_u32_e32 v5, vcc, 0, v5, vcc
	v_add_co_u32_e32 v8, vcc, v8, v4
	v_addc_co_u32_e32 v9, vcc, 0, v5, vcc
	v_mul_lo_u32 v10, s51, v8
	v_mul_lo_u32 v11, s50, v9
	v_mad_u64_u32 v[4:5], s[4:5], s50, v8, 0
	v_add3_u32 v5, v5, v11, v10
	v_sub_u32_e32 v10, v7, v5
	v_mov_b32_e32 v11, s51
	v_sub_co_u32_e32 v4, vcc, v6, v4
	v_subb_co_u32_e64 v6, s[4:5], v10, v11, vcc
	v_subrev_co_u32_e64 v10, s[4:5], s50, v4
	v_subbrev_co_u32_e64 v6, s[4:5], 0, v6, s[4:5]
	v_cmp_le_u32_e64 s[4:5], s51, v6
	v_cndmask_b32_e64 v11, 0, -1, s[4:5]
	v_cmp_le_u32_e64 s[4:5], s50, v10
	v_cndmask_b32_e64 v10, 0, -1, s[4:5]
	v_cmp_eq_u32_e64 s[4:5], s51, v6
	v_cndmask_b32_e64 v6, v11, v10, s[4:5]
	v_add_co_u32_e64 v10, s[4:5], 2, v8
	v_subb_co_u32_e32 v5, vcc, v7, v5, vcc
	v_addc_co_u32_e64 v11, s[4:5], 0, v9, s[4:5]
	v_cmp_le_u32_e32 vcc, s51, v5
	v_add_co_u32_e64 v12, s[4:5], 1, v8
	v_cndmask_b32_e64 v7, 0, -1, vcc
	v_cmp_le_u32_e32 vcc, s50, v4
	v_addc_co_u32_e64 v13, s[4:5], 0, v9, s[4:5]
	v_cndmask_b32_e64 v4, 0, -1, vcc
	v_cmp_eq_u32_e32 vcc, s51, v5
	v_cmp_ne_u32_e64 s[4:5], 0, v6
	v_cndmask_b32_e32 v4, v7, v4, vcc
	v_cndmask_b32_e64 v6, v13, v11, s[4:5]
	v_cmp_ne_u32_e32 vcc, 0, v4
	v_cndmask_b32_e64 v4, v12, v10, s[4:5]
	v_cndmask_b32_e32 v5, v9, v6, vcc
	v_cndmask_b32_e32 v4, v8, v4, vcc
                                        ; implicit-def: $vgpr6
.LBB17_151:
	s_andn2_saveexec_b64 s[4:5], s[6:7]
	s_cbranch_execz .LBB17_153
; %bb.152:
	v_cvt_f32_u32_e32 v4, s50
	s_sub_i32 s6, 0, s50
	v_rcp_iflag_f32_e32 v4, v4
	v_mul_f32_e32 v4, 0x4f7ffffe, v4
	v_cvt_u32_f32_e32 v4, v4
	v_mul_lo_u32 v5, s6, v4
	v_mul_hi_u32 v5, v4, v5
	v_add_u32_e32 v4, v4, v5
	v_mul_hi_u32 v4, v6, v4
	v_mul_lo_u32 v5, v4, s50
	v_sub_u32_e32 v5, v6, v5
	v_add_u32_e32 v7, 1, v4
	v_subrev_u32_e32 v6, s50, v5
	v_cmp_le_u32_e32 vcc, s50, v5
	v_cndmask_b32_e32 v5, v5, v6, vcc
	v_cndmask_b32_e32 v4, v4, v7, vcc
	v_add_u32_e32 v6, 1, v4
	v_cmp_le_u32_e32 vcc, s50, v5
	v_cndmask_b32_e32 v4, v4, v6, vcc
	v_mov_b32_e32 v5, 0
.LBB17_153:
	s_or_b64 exec, exec, s[4:5]
	v_add_co_u32_e32 v8, vcc, 0x200, v28
	v_addc_co_u32_e32 v9, vcc, 0, v1, vcc
	v_or_b32_e32 v7, s51, v9
	v_mov_b32_e32 v6, 0
	v_cmp_ne_u64_e32 vcc, 0, v[6:7]
                                        ; implicit-def: $vgpr6_vgpr7
	s_and_saveexec_b64 s[4:5], vcc
	s_xor_b64 s[6:7], exec, s[4:5]
	s_cbranch_execz .LBB17_155
; %bb.154:
	v_cvt_f32_u32_e32 v6, s50
	v_cvt_f32_u32_e32 v7, s51
	s_sub_u32 s4, 0, s50
	s_subb_u32 s5, 0, s51
	v_madmk_f32 v6, v7, 0x4f800000, v6
	v_rcp_f32_e32 v6, v6
	v_mul_f32_e32 v6, 0x5f7ffffc, v6
	v_mul_f32_e32 v7, 0x2f800000, v6
	v_trunc_f32_e32 v7, v7
	v_madmk_f32 v6, v7, 0xcf800000, v6
	v_cvt_u32_f32_e32 v7, v7
	v_cvt_u32_f32_e32 v6, v6
	v_mul_lo_u32 v10, s4, v7
	v_mul_hi_u32 v12, s4, v6
	v_mul_lo_u32 v11, s5, v6
	v_add_u32_e32 v10, v12, v10
	v_mul_lo_u32 v13, s4, v6
	v_add_u32_e32 v10, v10, v11
	v_mul_hi_u32 v12, v6, v13
	v_mul_lo_u32 v14, v6, v10
	v_mul_hi_u32 v11, v6, v10
	v_add_co_u32_e32 v12, vcc, v12, v14
	v_addc_co_u32_e32 v11, vcc, 0, v11, vcc
	v_mul_hi_u32 v15, v7, v13
	v_mul_lo_u32 v13, v7, v13
	v_add_co_u32_e32 v12, vcc, v12, v13
	v_mul_hi_u32 v14, v7, v10
	v_addc_co_u32_e32 v11, vcc, v11, v15, vcc
	v_addc_co_u32_e32 v12, vcc, 0, v14, vcc
	v_mul_lo_u32 v10, v7, v10
	v_add_co_u32_e32 v10, vcc, v11, v10
	v_addc_co_u32_e32 v11, vcc, 0, v12, vcc
	v_add_co_u32_e32 v6, vcc, v6, v10
	v_addc_co_u32_e32 v7, vcc, v7, v11, vcc
	v_mul_lo_u32 v10, s4, v7
	v_mul_hi_u32 v11, s4, v6
	v_add_u32_e32 v10, v11, v10
	v_mul_lo_u32 v11, s5, v6
	v_add_u32_e32 v10, v10, v11
	v_mul_lo_u32 v12, s4, v6
	v_mul_hi_u32 v13, v7, v12
	v_mul_lo_u32 v14, v7, v12
	v_mul_lo_u32 v16, v6, v10
	v_mul_hi_u32 v12, v6, v12
	v_mul_hi_u32 v15, v6, v10
	v_add_co_u32_e32 v12, vcc, v12, v16
	v_addc_co_u32_e32 v15, vcc, 0, v15, vcc
	v_add_co_u32_e32 v12, vcc, v12, v14
	v_mul_hi_u32 v11, v7, v10
	v_addc_co_u32_e32 v12, vcc, v15, v13, vcc
	v_addc_co_u32_e32 v11, vcc, 0, v11, vcc
	v_mul_lo_u32 v10, v7, v10
	v_add_co_u32_e32 v10, vcc, v12, v10
	v_addc_co_u32_e32 v11, vcc, 0, v11, vcc
	v_add_co_u32_e32 v10, vcc, v6, v10
	v_addc_co_u32_e32 v11, vcc, v7, v11, vcc
	v_mad_u64_u32 v[6:7], s[4:5], v8, v11, 0
	v_mul_hi_u32 v12, v8, v10
	v_add_co_u32_e32 v12, vcc, v12, v6
	v_addc_co_u32_e32 v13, vcc, 0, v7, vcc
	v_mad_u64_u32 v[6:7], s[4:5], v9, v11, 0
	v_mad_u64_u32 v[10:11], s[4:5], v9, v10, 0
	v_add_co_u32_e32 v10, vcc, v12, v10
	v_addc_co_u32_e32 v10, vcc, v13, v11, vcc
	v_addc_co_u32_e32 v7, vcc, 0, v7, vcc
	v_add_co_u32_e32 v10, vcc, v10, v6
	v_addc_co_u32_e32 v11, vcc, 0, v7, vcc
	v_mul_lo_u32 v12, s51, v10
	v_mul_lo_u32 v13, s50, v11
	v_mad_u64_u32 v[6:7], s[4:5], s50, v10, 0
	v_add3_u32 v7, v7, v13, v12
	v_sub_u32_e32 v12, v9, v7
	v_mov_b32_e32 v13, s51
	v_sub_co_u32_e32 v6, vcc, v8, v6
	v_subb_co_u32_e64 v8, s[4:5], v12, v13, vcc
	v_subrev_co_u32_e64 v12, s[4:5], s50, v6
	v_subbrev_co_u32_e64 v8, s[4:5], 0, v8, s[4:5]
	v_cmp_le_u32_e64 s[4:5], s51, v8
	v_cndmask_b32_e64 v13, 0, -1, s[4:5]
	v_cmp_le_u32_e64 s[4:5], s50, v12
	v_cndmask_b32_e64 v12, 0, -1, s[4:5]
	v_cmp_eq_u32_e64 s[4:5], s51, v8
	v_cndmask_b32_e64 v8, v13, v12, s[4:5]
	v_add_co_u32_e64 v12, s[4:5], 2, v10
	v_subb_co_u32_e32 v7, vcc, v9, v7, vcc
	v_addc_co_u32_e64 v13, s[4:5], 0, v11, s[4:5]
	v_cmp_le_u32_e32 vcc, s51, v7
	v_add_co_u32_e64 v14, s[4:5], 1, v10
	v_cndmask_b32_e64 v9, 0, -1, vcc
	v_cmp_le_u32_e32 vcc, s50, v6
	v_addc_co_u32_e64 v15, s[4:5], 0, v11, s[4:5]
	v_cndmask_b32_e64 v6, 0, -1, vcc
	v_cmp_eq_u32_e32 vcc, s51, v7
	v_cmp_ne_u32_e64 s[4:5], 0, v8
	v_cndmask_b32_e32 v6, v9, v6, vcc
	v_cndmask_b32_e64 v8, v15, v13, s[4:5]
	v_cmp_ne_u32_e32 vcc, 0, v6
	v_cndmask_b32_e64 v6, v14, v12, s[4:5]
	v_cndmask_b32_e32 v7, v11, v8, vcc
	v_cndmask_b32_e32 v6, v10, v6, vcc
                                        ; implicit-def: $vgpr8
.LBB17_155:
	s_andn2_saveexec_b64 s[4:5], s[6:7]
	s_cbranch_execz .LBB17_157
; %bb.156:
	v_cvt_f32_u32_e32 v6, s50
	s_sub_i32 s6, 0, s50
	v_rcp_iflag_f32_e32 v6, v6
	v_mul_f32_e32 v6, 0x4f7ffffe, v6
	v_cvt_u32_f32_e32 v6, v6
	v_mul_lo_u32 v7, s6, v6
	v_mul_hi_u32 v7, v6, v7
	v_add_u32_e32 v6, v6, v7
	v_mul_hi_u32 v6, v8, v6
	v_mul_lo_u32 v7, v6, s50
	v_sub_u32_e32 v7, v8, v7
	v_add_u32_e32 v9, 1, v6
	v_subrev_u32_e32 v8, s50, v7
	v_cmp_le_u32_e32 vcc, s50, v7
	v_cndmask_b32_e32 v7, v7, v8, vcc
	v_cndmask_b32_e32 v6, v6, v9, vcc
	v_add_u32_e32 v8, 1, v6
	v_cmp_le_u32_e32 vcc, s50, v7
	v_cndmask_b32_e32 v6, v6, v8, vcc
	v_mov_b32_e32 v7, 0
.LBB17_157:
	s_or_b64 exec, exec, s[4:5]
	v_add_co_u32_e32 v10, vcc, 0x300, v28
	v_addc_co_u32_e32 v11, vcc, 0, v1, vcc
	v_or_b32_e32 v9, s51, v11
	v_mov_b32_e32 v8, 0
	v_cmp_ne_u64_e32 vcc, 0, v[8:9]
                                        ; implicit-def: $vgpr8_vgpr9
	s_and_saveexec_b64 s[4:5], vcc
	s_xor_b64 s[6:7], exec, s[4:5]
	s_cbranch_execz .LBB17_159
; %bb.158:
	v_cvt_f32_u32_e32 v8, s50
	v_cvt_f32_u32_e32 v9, s51
	s_sub_u32 s4, 0, s50
	s_subb_u32 s5, 0, s51
	v_madmk_f32 v8, v9, 0x4f800000, v8
	v_rcp_f32_e32 v8, v8
	v_mul_f32_e32 v8, 0x5f7ffffc, v8
	v_mul_f32_e32 v9, 0x2f800000, v8
	v_trunc_f32_e32 v9, v9
	v_madmk_f32 v8, v9, 0xcf800000, v8
	v_cvt_u32_f32_e32 v9, v9
	v_cvt_u32_f32_e32 v8, v8
	v_mul_lo_u32 v12, s4, v9
	v_mul_hi_u32 v14, s4, v8
	v_mul_lo_u32 v13, s5, v8
	v_add_u32_e32 v12, v14, v12
	v_mul_lo_u32 v15, s4, v8
	v_add_u32_e32 v12, v12, v13
	v_mul_hi_u32 v14, v8, v15
	v_mul_lo_u32 v16, v8, v12
	v_mul_hi_u32 v13, v8, v12
	v_add_co_u32_e32 v14, vcc, v14, v16
	v_addc_co_u32_e32 v13, vcc, 0, v13, vcc
	v_mul_hi_u32 v17, v9, v15
	v_mul_lo_u32 v15, v9, v15
	v_add_co_u32_e32 v14, vcc, v14, v15
	v_mul_hi_u32 v16, v9, v12
	v_addc_co_u32_e32 v13, vcc, v13, v17, vcc
	v_addc_co_u32_e32 v14, vcc, 0, v16, vcc
	v_mul_lo_u32 v12, v9, v12
	v_add_co_u32_e32 v12, vcc, v13, v12
	v_addc_co_u32_e32 v13, vcc, 0, v14, vcc
	v_add_co_u32_e32 v8, vcc, v8, v12
	v_addc_co_u32_e32 v9, vcc, v9, v13, vcc
	v_mul_lo_u32 v12, s4, v9
	v_mul_hi_u32 v13, s4, v8
	v_add_u32_e32 v12, v13, v12
	v_mul_lo_u32 v13, s5, v8
	v_add_u32_e32 v12, v12, v13
	v_mul_lo_u32 v14, s4, v8
	v_mul_hi_u32 v15, v9, v14
	v_mul_lo_u32 v16, v9, v14
	v_mul_lo_u32 v18, v8, v12
	v_mul_hi_u32 v14, v8, v14
	v_mul_hi_u32 v17, v8, v12
	v_add_co_u32_e32 v14, vcc, v14, v18
	v_addc_co_u32_e32 v17, vcc, 0, v17, vcc
	v_add_co_u32_e32 v14, vcc, v14, v16
	v_mul_hi_u32 v13, v9, v12
	v_addc_co_u32_e32 v14, vcc, v17, v15, vcc
	v_addc_co_u32_e32 v13, vcc, 0, v13, vcc
	v_mul_lo_u32 v12, v9, v12
	v_add_co_u32_e32 v12, vcc, v14, v12
	v_addc_co_u32_e32 v13, vcc, 0, v13, vcc
	v_add_co_u32_e32 v12, vcc, v8, v12
	v_addc_co_u32_e32 v13, vcc, v9, v13, vcc
	v_mad_u64_u32 v[8:9], s[4:5], v10, v13, 0
	v_mul_hi_u32 v14, v10, v12
	v_add_co_u32_e32 v14, vcc, v14, v8
	v_addc_co_u32_e32 v15, vcc, 0, v9, vcc
	v_mad_u64_u32 v[8:9], s[4:5], v11, v13, 0
	v_mad_u64_u32 v[12:13], s[4:5], v11, v12, 0
	v_add_co_u32_e32 v12, vcc, v14, v12
	v_addc_co_u32_e32 v12, vcc, v15, v13, vcc
	v_addc_co_u32_e32 v9, vcc, 0, v9, vcc
	v_add_co_u32_e32 v12, vcc, v12, v8
	v_addc_co_u32_e32 v13, vcc, 0, v9, vcc
	v_mul_lo_u32 v14, s51, v12
	v_mul_lo_u32 v15, s50, v13
	v_mad_u64_u32 v[8:9], s[4:5], s50, v12, 0
	v_add3_u32 v9, v9, v15, v14
	v_sub_u32_e32 v14, v11, v9
	v_mov_b32_e32 v15, s51
	v_sub_co_u32_e32 v8, vcc, v10, v8
	v_subb_co_u32_e64 v10, s[4:5], v14, v15, vcc
	v_subrev_co_u32_e64 v14, s[4:5], s50, v8
	v_subbrev_co_u32_e64 v10, s[4:5], 0, v10, s[4:5]
	v_cmp_le_u32_e64 s[4:5], s51, v10
	v_cndmask_b32_e64 v15, 0, -1, s[4:5]
	v_cmp_le_u32_e64 s[4:5], s50, v14
	v_cndmask_b32_e64 v14, 0, -1, s[4:5]
	v_cmp_eq_u32_e64 s[4:5], s51, v10
	v_cndmask_b32_e64 v10, v15, v14, s[4:5]
	v_add_co_u32_e64 v14, s[4:5], 2, v12
	v_subb_co_u32_e32 v9, vcc, v11, v9, vcc
	v_addc_co_u32_e64 v15, s[4:5], 0, v13, s[4:5]
	v_cmp_le_u32_e32 vcc, s51, v9
	v_add_co_u32_e64 v16, s[4:5], 1, v12
	v_cndmask_b32_e64 v11, 0, -1, vcc
	v_cmp_le_u32_e32 vcc, s50, v8
	v_addc_co_u32_e64 v17, s[4:5], 0, v13, s[4:5]
	v_cndmask_b32_e64 v8, 0, -1, vcc
	v_cmp_eq_u32_e32 vcc, s51, v9
	v_cmp_ne_u32_e64 s[4:5], 0, v10
	v_cndmask_b32_e32 v8, v11, v8, vcc
	v_cndmask_b32_e64 v10, v17, v15, s[4:5]
	v_cmp_ne_u32_e32 vcc, 0, v8
	v_cndmask_b32_e64 v8, v16, v14, s[4:5]
	v_cndmask_b32_e32 v9, v13, v10, vcc
	v_cndmask_b32_e32 v8, v12, v8, vcc
                                        ; implicit-def: $vgpr10
.LBB17_159:
	s_andn2_saveexec_b64 s[4:5], s[6:7]
	s_cbranch_execz .LBB17_161
; %bb.160:
	v_cvt_f32_u32_e32 v8, s50
	s_sub_i32 s6, 0, s50
	v_rcp_iflag_f32_e32 v8, v8
	v_mul_f32_e32 v8, 0x4f7ffffe, v8
	v_cvt_u32_f32_e32 v8, v8
	v_mul_lo_u32 v9, s6, v8
	v_mul_hi_u32 v9, v8, v9
	v_add_u32_e32 v8, v8, v9
	v_mul_hi_u32 v8, v10, v8
	v_mul_lo_u32 v9, v8, s50
	v_sub_u32_e32 v9, v10, v9
	v_add_u32_e32 v11, 1, v8
	v_subrev_u32_e32 v10, s50, v9
	v_cmp_le_u32_e32 vcc, s50, v9
	v_cndmask_b32_e32 v9, v9, v10, vcc
	v_cndmask_b32_e32 v8, v8, v11, vcc
	v_add_u32_e32 v10, 1, v8
	v_cmp_le_u32_e32 vcc, s50, v9
	v_cndmask_b32_e32 v8, v8, v10, vcc
	v_mov_b32_e32 v9, 0
.LBB17_161:
	s_or_b64 exec, exec, s[4:5]
	v_add_co_u32_e32 v12, vcc, 0x400, v28
	v_addc_co_u32_e32 v13, vcc, 0, v1, vcc
	v_or_b32_e32 v11, s51, v13
	v_mov_b32_e32 v10, 0
	v_cmp_ne_u64_e32 vcc, 0, v[10:11]
                                        ; implicit-def: $vgpr10_vgpr11
	s_and_saveexec_b64 s[4:5], vcc
	s_xor_b64 s[6:7], exec, s[4:5]
	s_cbranch_execz .LBB17_163
; %bb.162:
	v_cvt_f32_u32_e32 v10, s50
	v_cvt_f32_u32_e32 v11, s51
	s_sub_u32 s4, 0, s50
	s_subb_u32 s5, 0, s51
	v_madmk_f32 v10, v11, 0x4f800000, v10
	v_rcp_f32_e32 v10, v10
	v_mul_f32_e32 v10, 0x5f7ffffc, v10
	v_mul_f32_e32 v11, 0x2f800000, v10
	v_trunc_f32_e32 v11, v11
	v_madmk_f32 v10, v11, 0xcf800000, v10
	v_cvt_u32_f32_e32 v11, v11
	v_cvt_u32_f32_e32 v10, v10
	v_mul_lo_u32 v14, s4, v11
	v_mul_hi_u32 v16, s4, v10
	v_mul_lo_u32 v15, s5, v10
	v_add_u32_e32 v14, v16, v14
	v_mul_lo_u32 v17, s4, v10
	v_add_u32_e32 v14, v14, v15
	v_mul_hi_u32 v16, v10, v17
	v_mul_lo_u32 v18, v10, v14
	v_mul_hi_u32 v15, v10, v14
	v_add_co_u32_e32 v16, vcc, v16, v18
	v_addc_co_u32_e32 v15, vcc, 0, v15, vcc
	v_mul_hi_u32 v19, v11, v17
	v_mul_lo_u32 v17, v11, v17
	v_add_co_u32_e32 v16, vcc, v16, v17
	v_mul_hi_u32 v18, v11, v14
	v_addc_co_u32_e32 v15, vcc, v15, v19, vcc
	v_addc_co_u32_e32 v16, vcc, 0, v18, vcc
	v_mul_lo_u32 v14, v11, v14
	v_add_co_u32_e32 v14, vcc, v15, v14
	v_addc_co_u32_e32 v15, vcc, 0, v16, vcc
	v_add_co_u32_e32 v10, vcc, v10, v14
	v_addc_co_u32_e32 v11, vcc, v11, v15, vcc
	v_mul_lo_u32 v14, s4, v11
	v_mul_hi_u32 v15, s4, v10
	v_add_u32_e32 v14, v15, v14
	v_mul_lo_u32 v15, s5, v10
	v_add_u32_e32 v14, v14, v15
	v_mul_lo_u32 v16, s4, v10
	v_mul_hi_u32 v17, v11, v16
	v_mul_lo_u32 v18, v11, v16
	v_mul_lo_u32 v20, v10, v14
	v_mul_hi_u32 v16, v10, v16
	v_mul_hi_u32 v19, v10, v14
	v_add_co_u32_e32 v16, vcc, v16, v20
	v_addc_co_u32_e32 v19, vcc, 0, v19, vcc
	v_add_co_u32_e32 v16, vcc, v16, v18
	v_mul_hi_u32 v15, v11, v14
	v_addc_co_u32_e32 v16, vcc, v19, v17, vcc
	v_addc_co_u32_e32 v15, vcc, 0, v15, vcc
	v_mul_lo_u32 v14, v11, v14
	v_add_co_u32_e32 v14, vcc, v16, v14
	v_addc_co_u32_e32 v15, vcc, 0, v15, vcc
	v_add_co_u32_e32 v14, vcc, v10, v14
	v_addc_co_u32_e32 v15, vcc, v11, v15, vcc
	v_mad_u64_u32 v[10:11], s[4:5], v12, v15, 0
	v_mul_hi_u32 v16, v12, v14
	v_add_co_u32_e32 v16, vcc, v16, v10
	v_addc_co_u32_e32 v17, vcc, 0, v11, vcc
	v_mad_u64_u32 v[10:11], s[4:5], v13, v15, 0
	v_mad_u64_u32 v[14:15], s[4:5], v13, v14, 0
	v_add_co_u32_e32 v14, vcc, v16, v14
	v_addc_co_u32_e32 v14, vcc, v17, v15, vcc
	v_addc_co_u32_e32 v11, vcc, 0, v11, vcc
	v_add_co_u32_e32 v14, vcc, v14, v10
	v_addc_co_u32_e32 v15, vcc, 0, v11, vcc
	v_mul_lo_u32 v16, s51, v14
	v_mul_lo_u32 v17, s50, v15
	v_mad_u64_u32 v[10:11], s[4:5], s50, v14, 0
	v_add3_u32 v11, v11, v17, v16
	v_sub_u32_e32 v16, v13, v11
	v_mov_b32_e32 v17, s51
	v_sub_co_u32_e32 v10, vcc, v12, v10
	v_subb_co_u32_e64 v12, s[4:5], v16, v17, vcc
	v_subrev_co_u32_e64 v16, s[4:5], s50, v10
	v_subbrev_co_u32_e64 v12, s[4:5], 0, v12, s[4:5]
	v_cmp_le_u32_e64 s[4:5], s51, v12
	v_cndmask_b32_e64 v17, 0, -1, s[4:5]
	v_cmp_le_u32_e64 s[4:5], s50, v16
	v_cndmask_b32_e64 v16, 0, -1, s[4:5]
	v_cmp_eq_u32_e64 s[4:5], s51, v12
	v_cndmask_b32_e64 v12, v17, v16, s[4:5]
	v_add_co_u32_e64 v16, s[4:5], 2, v14
	v_subb_co_u32_e32 v11, vcc, v13, v11, vcc
	v_addc_co_u32_e64 v17, s[4:5], 0, v15, s[4:5]
	v_cmp_le_u32_e32 vcc, s51, v11
	v_add_co_u32_e64 v18, s[4:5], 1, v14
	v_cndmask_b32_e64 v13, 0, -1, vcc
	v_cmp_le_u32_e32 vcc, s50, v10
	v_addc_co_u32_e64 v19, s[4:5], 0, v15, s[4:5]
	v_cndmask_b32_e64 v10, 0, -1, vcc
	v_cmp_eq_u32_e32 vcc, s51, v11
	v_cmp_ne_u32_e64 s[4:5], 0, v12
	v_cndmask_b32_e32 v10, v13, v10, vcc
	v_cndmask_b32_e64 v12, v19, v17, s[4:5]
	v_cmp_ne_u32_e32 vcc, 0, v10
	v_cndmask_b32_e64 v10, v18, v16, s[4:5]
	v_cndmask_b32_e32 v11, v15, v12, vcc
	v_cndmask_b32_e32 v10, v14, v10, vcc
                                        ; implicit-def: $vgpr12
.LBB17_163:
	s_andn2_saveexec_b64 s[4:5], s[6:7]
	s_cbranch_execz .LBB17_165
; %bb.164:
	v_cvt_f32_u32_e32 v10, s50
	s_sub_i32 s6, 0, s50
	v_rcp_iflag_f32_e32 v10, v10
	v_mul_f32_e32 v10, 0x4f7ffffe, v10
	v_cvt_u32_f32_e32 v10, v10
	v_mul_lo_u32 v11, s6, v10
	v_mul_hi_u32 v11, v10, v11
	v_add_u32_e32 v10, v10, v11
	v_mul_hi_u32 v10, v12, v10
	v_mul_lo_u32 v11, v10, s50
	v_sub_u32_e32 v11, v12, v11
	v_add_u32_e32 v13, 1, v10
	v_subrev_u32_e32 v12, s50, v11
	v_cmp_le_u32_e32 vcc, s50, v11
	v_cndmask_b32_e32 v11, v11, v12, vcc
	v_cndmask_b32_e32 v10, v10, v13, vcc
	v_add_u32_e32 v12, 1, v10
	v_cmp_le_u32_e32 vcc, s50, v11
	v_cndmask_b32_e32 v10, v10, v12, vcc
	v_mov_b32_e32 v11, 0
.LBB17_165:
	s_or_b64 exec, exec, s[4:5]
	v_add_co_u32_e32 v14, vcc, 0x500, v28
	v_addc_co_u32_e32 v15, vcc, 0, v1, vcc
	v_or_b32_e32 v13, s51, v15
	v_mov_b32_e32 v12, 0
	v_cmp_ne_u64_e32 vcc, 0, v[12:13]
                                        ; implicit-def: $vgpr12_vgpr13
	s_and_saveexec_b64 s[4:5], vcc
	s_xor_b64 s[6:7], exec, s[4:5]
	s_cbranch_execz .LBB17_167
; %bb.166:
	v_cvt_f32_u32_e32 v12, s50
	v_cvt_f32_u32_e32 v13, s51
	s_sub_u32 s4, 0, s50
	s_subb_u32 s5, 0, s51
	v_madmk_f32 v12, v13, 0x4f800000, v12
	v_rcp_f32_e32 v12, v12
	v_mul_f32_e32 v12, 0x5f7ffffc, v12
	v_mul_f32_e32 v13, 0x2f800000, v12
	v_trunc_f32_e32 v13, v13
	v_madmk_f32 v12, v13, 0xcf800000, v12
	v_cvt_u32_f32_e32 v13, v13
	v_cvt_u32_f32_e32 v12, v12
	v_mul_lo_u32 v16, s4, v13
	v_mul_hi_u32 v18, s4, v12
	v_mul_lo_u32 v17, s5, v12
	v_add_u32_e32 v16, v18, v16
	v_mul_lo_u32 v19, s4, v12
	v_add_u32_e32 v16, v16, v17
	v_mul_hi_u32 v18, v12, v19
	v_mul_lo_u32 v20, v12, v16
	v_mul_hi_u32 v17, v12, v16
	v_add_co_u32_e32 v18, vcc, v18, v20
	v_addc_co_u32_e32 v17, vcc, 0, v17, vcc
	v_mul_hi_u32 v21, v13, v19
	v_mul_lo_u32 v19, v13, v19
	v_add_co_u32_e32 v18, vcc, v18, v19
	v_mul_hi_u32 v20, v13, v16
	v_addc_co_u32_e32 v17, vcc, v17, v21, vcc
	v_addc_co_u32_e32 v18, vcc, 0, v20, vcc
	v_mul_lo_u32 v16, v13, v16
	v_add_co_u32_e32 v16, vcc, v17, v16
	v_addc_co_u32_e32 v17, vcc, 0, v18, vcc
	v_add_co_u32_e32 v12, vcc, v12, v16
	v_addc_co_u32_e32 v13, vcc, v13, v17, vcc
	v_mul_lo_u32 v16, s4, v13
	v_mul_hi_u32 v17, s4, v12
	v_add_u32_e32 v16, v17, v16
	v_mul_lo_u32 v17, s5, v12
	v_add_u32_e32 v16, v16, v17
	v_mul_lo_u32 v18, s4, v12
	v_mul_hi_u32 v19, v13, v18
	v_mul_lo_u32 v20, v13, v18
	v_mul_lo_u32 v22, v12, v16
	v_mul_hi_u32 v18, v12, v18
	v_mul_hi_u32 v21, v12, v16
	v_add_co_u32_e32 v18, vcc, v18, v22
	v_addc_co_u32_e32 v21, vcc, 0, v21, vcc
	v_add_co_u32_e32 v18, vcc, v18, v20
	v_mul_hi_u32 v17, v13, v16
	v_addc_co_u32_e32 v18, vcc, v21, v19, vcc
	v_addc_co_u32_e32 v17, vcc, 0, v17, vcc
	v_mul_lo_u32 v16, v13, v16
	v_add_co_u32_e32 v16, vcc, v18, v16
	v_addc_co_u32_e32 v17, vcc, 0, v17, vcc
	v_add_co_u32_e32 v16, vcc, v12, v16
	v_addc_co_u32_e32 v17, vcc, v13, v17, vcc
	v_mad_u64_u32 v[12:13], s[4:5], v14, v17, 0
	v_mul_hi_u32 v18, v14, v16
	v_add_co_u32_e32 v18, vcc, v18, v12
	v_addc_co_u32_e32 v19, vcc, 0, v13, vcc
	v_mad_u64_u32 v[12:13], s[4:5], v15, v17, 0
	v_mad_u64_u32 v[16:17], s[4:5], v15, v16, 0
	v_add_co_u32_e32 v16, vcc, v18, v16
	v_addc_co_u32_e32 v16, vcc, v19, v17, vcc
	v_addc_co_u32_e32 v13, vcc, 0, v13, vcc
	v_add_co_u32_e32 v16, vcc, v16, v12
	v_addc_co_u32_e32 v17, vcc, 0, v13, vcc
	v_mul_lo_u32 v18, s51, v16
	v_mul_lo_u32 v19, s50, v17
	v_mad_u64_u32 v[12:13], s[4:5], s50, v16, 0
	v_add3_u32 v13, v13, v19, v18
	v_sub_u32_e32 v18, v15, v13
	v_mov_b32_e32 v19, s51
	v_sub_co_u32_e32 v12, vcc, v14, v12
	v_subb_co_u32_e64 v14, s[4:5], v18, v19, vcc
	v_subrev_co_u32_e64 v18, s[4:5], s50, v12
	v_subbrev_co_u32_e64 v14, s[4:5], 0, v14, s[4:5]
	v_cmp_le_u32_e64 s[4:5], s51, v14
	v_cndmask_b32_e64 v19, 0, -1, s[4:5]
	v_cmp_le_u32_e64 s[4:5], s50, v18
	v_cndmask_b32_e64 v18, 0, -1, s[4:5]
	v_cmp_eq_u32_e64 s[4:5], s51, v14
	v_cndmask_b32_e64 v14, v19, v18, s[4:5]
	v_add_co_u32_e64 v18, s[4:5], 2, v16
	v_subb_co_u32_e32 v13, vcc, v15, v13, vcc
	v_addc_co_u32_e64 v19, s[4:5], 0, v17, s[4:5]
	v_cmp_le_u32_e32 vcc, s51, v13
	v_add_co_u32_e64 v20, s[4:5], 1, v16
	v_cndmask_b32_e64 v15, 0, -1, vcc
	v_cmp_le_u32_e32 vcc, s50, v12
	v_addc_co_u32_e64 v21, s[4:5], 0, v17, s[4:5]
	v_cndmask_b32_e64 v12, 0, -1, vcc
	v_cmp_eq_u32_e32 vcc, s51, v13
	v_cmp_ne_u32_e64 s[4:5], 0, v14
	v_cndmask_b32_e32 v12, v15, v12, vcc
	v_cndmask_b32_e64 v14, v21, v19, s[4:5]
	v_cmp_ne_u32_e32 vcc, 0, v12
	v_cndmask_b32_e64 v12, v20, v18, s[4:5]
	v_cndmask_b32_e32 v13, v17, v14, vcc
	v_cndmask_b32_e32 v12, v16, v12, vcc
                                        ; implicit-def: $vgpr14
.LBB17_167:
	s_andn2_saveexec_b64 s[4:5], s[6:7]
	s_cbranch_execz .LBB17_169
; %bb.168:
	v_cvt_f32_u32_e32 v12, s50
	s_sub_i32 s6, 0, s50
	v_rcp_iflag_f32_e32 v12, v12
	v_mul_f32_e32 v12, 0x4f7ffffe, v12
	v_cvt_u32_f32_e32 v12, v12
	v_mul_lo_u32 v13, s6, v12
	v_mul_hi_u32 v13, v12, v13
	v_add_u32_e32 v12, v12, v13
	v_mul_hi_u32 v12, v14, v12
	v_mul_lo_u32 v13, v12, s50
	v_sub_u32_e32 v13, v14, v13
	v_add_u32_e32 v15, 1, v12
	v_subrev_u32_e32 v14, s50, v13
	v_cmp_le_u32_e32 vcc, s50, v13
	v_cndmask_b32_e32 v13, v13, v14, vcc
	v_cndmask_b32_e32 v12, v12, v15, vcc
	v_add_u32_e32 v14, 1, v12
	v_cmp_le_u32_e32 vcc, s50, v13
	v_cndmask_b32_e32 v12, v12, v14, vcc
	v_mov_b32_e32 v13, 0
.LBB17_169:
	s_or_b64 exec, exec, s[4:5]
	v_add_co_u32_e32 v16, vcc, 0x600, v28
	v_addc_co_u32_e32 v17, vcc, 0, v1, vcc
	v_or_b32_e32 v15, s51, v17
	v_mov_b32_e32 v14, 0
	v_cmp_ne_u64_e32 vcc, 0, v[14:15]
                                        ; implicit-def: $vgpr14_vgpr15
	s_and_saveexec_b64 s[4:5], vcc
	s_xor_b64 s[6:7], exec, s[4:5]
	s_cbranch_execz .LBB17_171
; %bb.170:
	v_cvt_f32_u32_e32 v14, s50
	v_cvt_f32_u32_e32 v15, s51
	s_sub_u32 s4, 0, s50
	s_subb_u32 s5, 0, s51
	v_madmk_f32 v14, v15, 0x4f800000, v14
	v_rcp_f32_e32 v14, v14
	v_mul_f32_e32 v14, 0x5f7ffffc, v14
	v_mul_f32_e32 v15, 0x2f800000, v14
	v_trunc_f32_e32 v15, v15
	v_madmk_f32 v14, v15, 0xcf800000, v14
	v_cvt_u32_f32_e32 v15, v15
	v_cvt_u32_f32_e32 v14, v14
	v_mul_lo_u32 v18, s4, v15
	v_mul_hi_u32 v20, s4, v14
	v_mul_lo_u32 v19, s5, v14
	v_add_u32_e32 v18, v20, v18
	v_mul_lo_u32 v21, s4, v14
	v_add_u32_e32 v18, v18, v19
	v_mul_hi_u32 v20, v14, v21
	v_mul_lo_u32 v22, v14, v18
	v_mul_hi_u32 v19, v14, v18
	v_add_co_u32_e32 v20, vcc, v20, v22
	v_addc_co_u32_e32 v19, vcc, 0, v19, vcc
	v_mul_hi_u32 v23, v15, v21
	v_mul_lo_u32 v21, v15, v21
	v_add_co_u32_e32 v20, vcc, v20, v21
	v_mul_hi_u32 v22, v15, v18
	v_addc_co_u32_e32 v19, vcc, v19, v23, vcc
	v_addc_co_u32_e32 v20, vcc, 0, v22, vcc
	v_mul_lo_u32 v18, v15, v18
	v_add_co_u32_e32 v18, vcc, v19, v18
	v_addc_co_u32_e32 v19, vcc, 0, v20, vcc
	v_add_co_u32_e32 v14, vcc, v14, v18
	v_addc_co_u32_e32 v15, vcc, v15, v19, vcc
	v_mul_lo_u32 v18, s4, v15
	v_mul_hi_u32 v19, s4, v14
	v_add_u32_e32 v18, v19, v18
	v_mul_lo_u32 v19, s5, v14
	v_add_u32_e32 v18, v18, v19
	v_mul_lo_u32 v20, s4, v14
	v_mul_hi_u32 v21, v15, v20
	v_mul_lo_u32 v22, v15, v20
	v_mul_lo_u32 v24, v14, v18
	v_mul_hi_u32 v20, v14, v20
	v_mul_hi_u32 v23, v14, v18
	v_add_co_u32_e32 v20, vcc, v20, v24
	v_addc_co_u32_e32 v23, vcc, 0, v23, vcc
	v_add_co_u32_e32 v20, vcc, v20, v22
	v_mul_hi_u32 v19, v15, v18
	v_addc_co_u32_e32 v20, vcc, v23, v21, vcc
	v_addc_co_u32_e32 v19, vcc, 0, v19, vcc
	v_mul_lo_u32 v18, v15, v18
	v_add_co_u32_e32 v18, vcc, v20, v18
	v_addc_co_u32_e32 v19, vcc, 0, v19, vcc
	v_add_co_u32_e32 v18, vcc, v14, v18
	v_addc_co_u32_e32 v19, vcc, v15, v19, vcc
	v_mad_u64_u32 v[14:15], s[4:5], v16, v19, 0
	v_mul_hi_u32 v20, v16, v18
	v_add_co_u32_e32 v20, vcc, v20, v14
	v_addc_co_u32_e32 v21, vcc, 0, v15, vcc
	v_mad_u64_u32 v[14:15], s[4:5], v17, v19, 0
	v_mad_u64_u32 v[18:19], s[4:5], v17, v18, 0
	v_add_co_u32_e32 v18, vcc, v20, v18
	v_addc_co_u32_e32 v18, vcc, v21, v19, vcc
	v_addc_co_u32_e32 v15, vcc, 0, v15, vcc
	v_add_co_u32_e32 v18, vcc, v18, v14
	v_addc_co_u32_e32 v19, vcc, 0, v15, vcc
	v_mul_lo_u32 v20, s51, v18
	v_mul_lo_u32 v21, s50, v19
	v_mad_u64_u32 v[14:15], s[4:5], s50, v18, 0
	v_add3_u32 v15, v15, v21, v20
	v_sub_u32_e32 v20, v17, v15
	v_mov_b32_e32 v21, s51
	v_sub_co_u32_e32 v14, vcc, v16, v14
	v_subb_co_u32_e64 v16, s[4:5], v20, v21, vcc
	v_subrev_co_u32_e64 v20, s[4:5], s50, v14
	v_subbrev_co_u32_e64 v16, s[4:5], 0, v16, s[4:5]
	v_cmp_le_u32_e64 s[4:5], s51, v16
	v_cndmask_b32_e64 v21, 0, -1, s[4:5]
	v_cmp_le_u32_e64 s[4:5], s50, v20
	v_cndmask_b32_e64 v20, 0, -1, s[4:5]
	v_cmp_eq_u32_e64 s[4:5], s51, v16
	v_cndmask_b32_e64 v16, v21, v20, s[4:5]
	v_add_co_u32_e64 v20, s[4:5], 2, v18
	v_subb_co_u32_e32 v15, vcc, v17, v15, vcc
	v_addc_co_u32_e64 v21, s[4:5], 0, v19, s[4:5]
	v_cmp_le_u32_e32 vcc, s51, v15
	v_add_co_u32_e64 v22, s[4:5], 1, v18
	v_cndmask_b32_e64 v17, 0, -1, vcc
	v_cmp_le_u32_e32 vcc, s50, v14
	v_addc_co_u32_e64 v23, s[4:5], 0, v19, s[4:5]
	v_cndmask_b32_e64 v14, 0, -1, vcc
	v_cmp_eq_u32_e32 vcc, s51, v15
	v_cmp_ne_u32_e64 s[4:5], 0, v16
	v_cndmask_b32_e32 v14, v17, v14, vcc
	v_cndmask_b32_e64 v16, v23, v21, s[4:5]
	v_cmp_ne_u32_e32 vcc, 0, v14
	v_cndmask_b32_e64 v14, v22, v20, s[4:5]
	v_cndmask_b32_e32 v15, v19, v16, vcc
	v_cndmask_b32_e32 v14, v18, v14, vcc
                                        ; implicit-def: $vgpr16
.LBB17_171:
	s_andn2_saveexec_b64 s[4:5], s[6:7]
	s_cbranch_execz .LBB17_173
; %bb.172:
	v_cvt_f32_u32_e32 v14, s50
	s_sub_i32 s6, 0, s50
	v_rcp_iflag_f32_e32 v14, v14
	v_mul_f32_e32 v14, 0x4f7ffffe, v14
	v_cvt_u32_f32_e32 v14, v14
	v_mul_lo_u32 v15, s6, v14
	v_mul_hi_u32 v15, v14, v15
	v_add_u32_e32 v14, v14, v15
	v_mul_hi_u32 v14, v16, v14
	v_mul_lo_u32 v15, v14, s50
	v_sub_u32_e32 v15, v16, v15
	v_add_u32_e32 v17, 1, v14
	v_subrev_u32_e32 v16, s50, v15
	v_cmp_le_u32_e32 vcc, s50, v15
	v_cndmask_b32_e32 v15, v15, v16, vcc
	v_cndmask_b32_e32 v14, v14, v17, vcc
	v_add_u32_e32 v16, 1, v14
	v_cmp_le_u32_e32 vcc, s50, v15
	v_cndmask_b32_e32 v14, v14, v16, vcc
	v_mov_b32_e32 v15, 0
.LBB17_173:
	s_or_b64 exec, exec, s[4:5]
	v_add_co_u32_e32 v18, vcc, 0x700, v28
	v_addc_co_u32_e32 v19, vcc, 0, v1, vcc
	v_or_b32_e32 v17, s51, v19
	v_mov_b32_e32 v16, 0
	v_cmp_ne_u64_e32 vcc, 0, v[16:17]
                                        ; implicit-def: $vgpr16_vgpr17
	s_and_saveexec_b64 s[4:5], vcc
	s_xor_b64 s[6:7], exec, s[4:5]
	s_cbranch_execz .LBB17_175
; %bb.174:
	v_cvt_f32_u32_e32 v16, s50
	v_cvt_f32_u32_e32 v17, s51
	s_sub_u32 s4, 0, s50
	s_subb_u32 s5, 0, s51
	v_madmk_f32 v16, v17, 0x4f800000, v16
	v_rcp_f32_e32 v16, v16
	v_mul_f32_e32 v16, 0x5f7ffffc, v16
	v_mul_f32_e32 v17, 0x2f800000, v16
	v_trunc_f32_e32 v17, v17
	v_madmk_f32 v16, v17, 0xcf800000, v16
	v_cvt_u32_f32_e32 v17, v17
	v_cvt_u32_f32_e32 v16, v16
	v_mul_lo_u32 v20, s4, v17
	v_mul_hi_u32 v22, s4, v16
	v_mul_lo_u32 v21, s5, v16
	v_add_u32_e32 v20, v22, v20
	v_mul_lo_u32 v23, s4, v16
	v_add_u32_e32 v20, v20, v21
	v_mul_hi_u32 v22, v16, v23
	v_mul_lo_u32 v24, v16, v20
	v_mul_hi_u32 v21, v16, v20
	v_add_co_u32_e32 v22, vcc, v22, v24
	v_addc_co_u32_e32 v21, vcc, 0, v21, vcc
	v_mul_hi_u32 v25, v17, v23
	v_mul_lo_u32 v23, v17, v23
	v_add_co_u32_e32 v22, vcc, v22, v23
	v_mul_hi_u32 v24, v17, v20
	v_addc_co_u32_e32 v21, vcc, v21, v25, vcc
	v_addc_co_u32_e32 v22, vcc, 0, v24, vcc
	v_mul_lo_u32 v20, v17, v20
	v_add_co_u32_e32 v20, vcc, v21, v20
	v_addc_co_u32_e32 v21, vcc, 0, v22, vcc
	v_add_co_u32_e32 v16, vcc, v16, v20
	v_addc_co_u32_e32 v17, vcc, v17, v21, vcc
	v_mul_lo_u32 v20, s4, v17
	v_mul_hi_u32 v21, s4, v16
	v_add_u32_e32 v20, v21, v20
	v_mul_lo_u32 v21, s5, v16
	v_add_u32_e32 v20, v20, v21
	v_mul_lo_u32 v22, s4, v16
	v_mul_hi_u32 v23, v17, v22
	v_mul_lo_u32 v24, v17, v22
	v_mul_lo_u32 v26, v16, v20
	v_mul_hi_u32 v22, v16, v22
	v_mul_hi_u32 v25, v16, v20
	v_add_co_u32_e32 v22, vcc, v22, v26
	v_addc_co_u32_e32 v25, vcc, 0, v25, vcc
	v_add_co_u32_e32 v22, vcc, v22, v24
	v_mul_hi_u32 v21, v17, v20
	v_addc_co_u32_e32 v22, vcc, v25, v23, vcc
	v_addc_co_u32_e32 v21, vcc, 0, v21, vcc
	v_mul_lo_u32 v20, v17, v20
	v_add_co_u32_e32 v20, vcc, v22, v20
	v_addc_co_u32_e32 v21, vcc, 0, v21, vcc
	v_add_co_u32_e32 v20, vcc, v16, v20
	v_addc_co_u32_e32 v21, vcc, v17, v21, vcc
	v_mad_u64_u32 v[16:17], s[4:5], v18, v21, 0
	v_mul_hi_u32 v22, v18, v20
	v_add_co_u32_e32 v22, vcc, v22, v16
	v_addc_co_u32_e32 v23, vcc, 0, v17, vcc
	v_mad_u64_u32 v[16:17], s[4:5], v19, v21, 0
	v_mad_u64_u32 v[20:21], s[4:5], v19, v20, 0
	v_add_co_u32_e32 v20, vcc, v22, v20
	v_addc_co_u32_e32 v20, vcc, v23, v21, vcc
	v_addc_co_u32_e32 v17, vcc, 0, v17, vcc
	v_add_co_u32_e32 v20, vcc, v20, v16
	v_addc_co_u32_e32 v21, vcc, 0, v17, vcc
	v_mul_lo_u32 v22, s51, v20
	v_mul_lo_u32 v23, s50, v21
	v_mad_u64_u32 v[16:17], s[4:5], s50, v20, 0
	v_add3_u32 v17, v17, v23, v22
	v_sub_u32_e32 v22, v19, v17
	v_mov_b32_e32 v23, s51
	v_sub_co_u32_e32 v16, vcc, v18, v16
	v_subb_co_u32_e64 v18, s[4:5], v22, v23, vcc
	v_subrev_co_u32_e64 v22, s[4:5], s50, v16
	v_subbrev_co_u32_e64 v18, s[4:5], 0, v18, s[4:5]
	v_cmp_le_u32_e64 s[4:5], s51, v18
	v_cndmask_b32_e64 v23, 0, -1, s[4:5]
	v_cmp_le_u32_e64 s[4:5], s50, v22
	v_cndmask_b32_e64 v22, 0, -1, s[4:5]
	v_cmp_eq_u32_e64 s[4:5], s51, v18
	v_cndmask_b32_e64 v18, v23, v22, s[4:5]
	v_add_co_u32_e64 v22, s[4:5], 2, v20
	v_subb_co_u32_e32 v17, vcc, v19, v17, vcc
	v_addc_co_u32_e64 v23, s[4:5], 0, v21, s[4:5]
	v_cmp_le_u32_e32 vcc, s51, v17
	v_add_co_u32_e64 v24, s[4:5], 1, v20
	v_cndmask_b32_e64 v19, 0, -1, vcc
	v_cmp_le_u32_e32 vcc, s50, v16
	v_addc_co_u32_e64 v25, s[4:5], 0, v21, s[4:5]
	v_cndmask_b32_e64 v16, 0, -1, vcc
	v_cmp_eq_u32_e32 vcc, s51, v17
	v_cmp_ne_u32_e64 s[4:5], 0, v18
	v_cndmask_b32_e32 v16, v19, v16, vcc
	v_cndmask_b32_e64 v18, v25, v23, s[4:5]
	v_cmp_ne_u32_e32 vcc, 0, v16
	v_cndmask_b32_e64 v16, v24, v22, s[4:5]
	v_cndmask_b32_e32 v17, v21, v18, vcc
	v_cndmask_b32_e32 v16, v20, v16, vcc
                                        ; implicit-def: $vgpr18
.LBB17_175:
	s_andn2_saveexec_b64 s[4:5], s[6:7]
	s_cbranch_execz .LBB17_177
; %bb.176:
	v_cvt_f32_u32_e32 v16, s50
	s_sub_i32 s6, 0, s50
	v_rcp_iflag_f32_e32 v16, v16
	v_mul_f32_e32 v16, 0x4f7ffffe, v16
	v_cvt_u32_f32_e32 v16, v16
	v_mul_lo_u32 v17, s6, v16
	v_mul_hi_u32 v17, v16, v17
	v_add_u32_e32 v16, v16, v17
	v_mul_hi_u32 v16, v18, v16
	v_mul_lo_u32 v17, v16, s50
	v_sub_u32_e32 v17, v18, v17
	v_add_u32_e32 v19, 1, v16
	v_subrev_u32_e32 v18, s50, v17
	v_cmp_le_u32_e32 vcc, s50, v17
	v_cndmask_b32_e32 v17, v17, v18, vcc
	v_cndmask_b32_e32 v16, v16, v19, vcc
	v_add_u32_e32 v18, 1, v16
	v_cmp_le_u32_e32 vcc, s50, v17
	v_cndmask_b32_e32 v16, v16, v18, vcc
	v_mov_b32_e32 v17, 0
.LBB17_177:
	s_or_b64 exec, exec, s[4:5]
	v_add_co_u32_e32 v20, vcc, 0x800, v28
	v_addc_co_u32_e32 v21, vcc, 0, v1, vcc
	v_or_b32_e32 v19, s51, v21
	v_mov_b32_e32 v18, 0
	v_cmp_ne_u64_e32 vcc, 0, v[18:19]
                                        ; implicit-def: $vgpr18_vgpr19
	s_and_saveexec_b64 s[4:5], vcc
	s_xor_b64 s[6:7], exec, s[4:5]
	s_cbranch_execz .LBB17_179
; %bb.178:
	v_cvt_f32_u32_e32 v18, s50
	v_cvt_f32_u32_e32 v19, s51
	s_sub_u32 s4, 0, s50
	s_subb_u32 s5, 0, s51
	v_madmk_f32 v18, v19, 0x4f800000, v18
	v_rcp_f32_e32 v18, v18
	v_mul_f32_e32 v18, 0x5f7ffffc, v18
	v_mul_f32_e32 v19, 0x2f800000, v18
	v_trunc_f32_e32 v19, v19
	v_madmk_f32 v18, v19, 0xcf800000, v18
	v_cvt_u32_f32_e32 v19, v19
	v_cvt_u32_f32_e32 v18, v18
	v_mul_lo_u32 v22, s4, v19
	v_mul_hi_u32 v24, s4, v18
	v_mul_lo_u32 v23, s5, v18
	v_add_u32_e32 v22, v24, v22
	v_mul_lo_u32 v25, s4, v18
	v_add_u32_e32 v22, v22, v23
	v_mul_hi_u32 v24, v18, v25
	v_mul_lo_u32 v26, v18, v22
	v_mul_hi_u32 v23, v18, v22
	v_add_co_u32_e32 v24, vcc, v24, v26
	v_addc_co_u32_e32 v23, vcc, 0, v23, vcc
	v_mul_hi_u32 v27, v19, v25
	v_mul_lo_u32 v25, v19, v25
	v_add_co_u32_e32 v24, vcc, v24, v25
	v_mul_hi_u32 v26, v19, v22
	v_addc_co_u32_e32 v23, vcc, v23, v27, vcc
	v_addc_co_u32_e32 v24, vcc, 0, v26, vcc
	v_mul_lo_u32 v22, v19, v22
	v_add_co_u32_e32 v22, vcc, v23, v22
	v_addc_co_u32_e32 v23, vcc, 0, v24, vcc
	v_add_co_u32_e32 v18, vcc, v18, v22
	v_addc_co_u32_e32 v19, vcc, v19, v23, vcc
	v_mul_lo_u32 v22, s4, v19
	v_mul_hi_u32 v23, s4, v18
	v_add_u32_e32 v22, v23, v22
	v_mul_lo_u32 v23, s5, v18
	v_add_u32_e32 v22, v22, v23
	v_mul_lo_u32 v24, s4, v18
	v_mul_hi_u32 v25, v19, v24
	v_mul_lo_u32 v26, v19, v24
	v_mul_lo_u32 v29, v18, v22
	v_mul_hi_u32 v24, v18, v24
	v_mul_hi_u32 v27, v18, v22
	v_add_co_u32_e32 v24, vcc, v24, v29
	v_addc_co_u32_e32 v27, vcc, 0, v27, vcc
	v_add_co_u32_e32 v24, vcc, v24, v26
	v_mul_hi_u32 v23, v19, v22
	v_addc_co_u32_e32 v24, vcc, v27, v25, vcc
	v_addc_co_u32_e32 v23, vcc, 0, v23, vcc
	v_mul_lo_u32 v22, v19, v22
	v_add_co_u32_e32 v22, vcc, v24, v22
	v_addc_co_u32_e32 v23, vcc, 0, v23, vcc
	v_add_co_u32_e32 v22, vcc, v18, v22
	v_addc_co_u32_e32 v23, vcc, v19, v23, vcc
	v_mad_u64_u32 v[18:19], s[4:5], v20, v23, 0
	v_mul_hi_u32 v24, v20, v22
	v_add_co_u32_e32 v24, vcc, v24, v18
	v_addc_co_u32_e32 v25, vcc, 0, v19, vcc
	v_mad_u64_u32 v[18:19], s[4:5], v21, v23, 0
	v_mad_u64_u32 v[22:23], s[4:5], v21, v22, 0
	v_add_co_u32_e32 v22, vcc, v24, v22
	v_addc_co_u32_e32 v22, vcc, v25, v23, vcc
	v_addc_co_u32_e32 v19, vcc, 0, v19, vcc
	v_add_co_u32_e32 v22, vcc, v22, v18
	v_addc_co_u32_e32 v23, vcc, 0, v19, vcc
	v_mul_lo_u32 v24, s51, v22
	v_mul_lo_u32 v25, s50, v23
	v_mad_u64_u32 v[18:19], s[4:5], s50, v22, 0
	v_add3_u32 v19, v19, v25, v24
	v_sub_u32_e32 v24, v21, v19
	v_mov_b32_e32 v25, s51
	v_sub_co_u32_e32 v18, vcc, v20, v18
	v_subb_co_u32_e64 v20, s[4:5], v24, v25, vcc
	v_subrev_co_u32_e64 v24, s[4:5], s50, v18
	v_subbrev_co_u32_e64 v20, s[4:5], 0, v20, s[4:5]
	v_cmp_le_u32_e64 s[4:5], s51, v20
	v_cndmask_b32_e64 v25, 0, -1, s[4:5]
	v_cmp_le_u32_e64 s[4:5], s50, v24
	v_cndmask_b32_e64 v24, 0, -1, s[4:5]
	v_cmp_eq_u32_e64 s[4:5], s51, v20
	v_cndmask_b32_e64 v20, v25, v24, s[4:5]
	v_add_co_u32_e64 v24, s[4:5], 2, v22
	v_subb_co_u32_e32 v19, vcc, v21, v19, vcc
	v_addc_co_u32_e64 v25, s[4:5], 0, v23, s[4:5]
	v_cmp_le_u32_e32 vcc, s51, v19
	v_add_co_u32_e64 v26, s[4:5], 1, v22
	v_cndmask_b32_e64 v21, 0, -1, vcc
	v_cmp_le_u32_e32 vcc, s50, v18
	v_addc_co_u32_e64 v27, s[4:5], 0, v23, s[4:5]
	v_cndmask_b32_e64 v18, 0, -1, vcc
	v_cmp_eq_u32_e32 vcc, s51, v19
	v_cmp_ne_u32_e64 s[4:5], 0, v20
	v_cndmask_b32_e32 v18, v21, v18, vcc
	v_cndmask_b32_e64 v20, v27, v25, s[4:5]
	v_cmp_ne_u32_e32 vcc, 0, v18
	v_cndmask_b32_e64 v18, v26, v24, s[4:5]
	v_cndmask_b32_e32 v19, v23, v20, vcc
	v_cndmask_b32_e32 v18, v22, v18, vcc
                                        ; implicit-def: $vgpr20
.LBB17_179:
	s_andn2_saveexec_b64 s[4:5], s[6:7]
	s_cbranch_execz .LBB17_181
; %bb.180:
	v_cvt_f32_u32_e32 v18, s50
	s_sub_i32 s6, 0, s50
	v_rcp_iflag_f32_e32 v18, v18
	v_mul_f32_e32 v18, 0x4f7ffffe, v18
	v_cvt_u32_f32_e32 v18, v18
	v_mul_lo_u32 v19, s6, v18
	v_mul_hi_u32 v19, v18, v19
	v_add_u32_e32 v18, v18, v19
	v_mul_hi_u32 v18, v20, v18
	v_mul_lo_u32 v19, v18, s50
	v_sub_u32_e32 v19, v20, v19
	v_add_u32_e32 v21, 1, v18
	v_subrev_u32_e32 v20, s50, v19
	v_cmp_le_u32_e32 vcc, s50, v19
	v_cndmask_b32_e32 v19, v19, v20, vcc
	v_cndmask_b32_e32 v18, v18, v21, vcc
	v_add_u32_e32 v20, 1, v18
	v_cmp_le_u32_e32 vcc, s50, v19
	v_cndmask_b32_e32 v18, v18, v20, vcc
	v_mov_b32_e32 v19, 0
.LBB17_181:
	s_or_b64 exec, exec, s[4:5]
	v_add_co_u32_e32 v22, vcc, 0x900, v28
	v_addc_co_u32_e32 v23, vcc, 0, v1, vcc
	v_or_b32_e32 v21, s51, v23
	v_mov_b32_e32 v20, 0
	v_cmp_ne_u64_e32 vcc, 0, v[20:21]
                                        ; implicit-def: $vgpr20_vgpr21
	s_and_saveexec_b64 s[4:5], vcc
	s_xor_b64 s[6:7], exec, s[4:5]
	s_cbranch_execz .LBB17_183
; %bb.182:
	v_cvt_f32_u32_e32 v20, s50
	v_cvt_f32_u32_e32 v21, s51
	s_sub_u32 s4, 0, s50
	s_subb_u32 s5, 0, s51
	v_madmk_f32 v20, v21, 0x4f800000, v20
	v_rcp_f32_e32 v20, v20
	v_mul_f32_e32 v20, 0x5f7ffffc, v20
	v_mul_f32_e32 v21, 0x2f800000, v20
	v_trunc_f32_e32 v21, v21
	v_madmk_f32 v20, v21, 0xcf800000, v20
	v_cvt_u32_f32_e32 v21, v21
	v_cvt_u32_f32_e32 v20, v20
	v_mul_lo_u32 v24, s4, v21
	v_mul_hi_u32 v26, s4, v20
	v_mul_lo_u32 v25, s5, v20
	v_add_u32_e32 v24, v26, v24
	v_mul_lo_u32 v27, s4, v20
	v_add_u32_e32 v24, v24, v25
	v_mul_hi_u32 v26, v20, v27
	v_mul_lo_u32 v29, v20, v24
	v_mul_hi_u32 v25, v20, v24
	v_add_co_u32_e32 v26, vcc, v26, v29
	v_addc_co_u32_e32 v25, vcc, 0, v25, vcc
	v_mul_hi_u32 v30, v21, v27
	v_mul_lo_u32 v27, v21, v27
	v_add_co_u32_e32 v26, vcc, v26, v27
	v_mul_hi_u32 v29, v21, v24
	v_addc_co_u32_e32 v25, vcc, v25, v30, vcc
	v_addc_co_u32_e32 v26, vcc, 0, v29, vcc
	v_mul_lo_u32 v24, v21, v24
	v_add_co_u32_e32 v24, vcc, v25, v24
	v_addc_co_u32_e32 v25, vcc, 0, v26, vcc
	v_add_co_u32_e32 v20, vcc, v20, v24
	v_addc_co_u32_e32 v21, vcc, v21, v25, vcc
	v_mul_lo_u32 v24, s4, v21
	v_mul_hi_u32 v25, s4, v20
	v_add_u32_e32 v24, v25, v24
	v_mul_lo_u32 v25, s5, v20
	v_add_u32_e32 v24, v24, v25
	v_mul_lo_u32 v26, s4, v20
	v_mul_hi_u32 v27, v21, v26
	v_mul_lo_u32 v29, v21, v26
	v_mul_lo_u32 v31, v20, v24
	v_mul_hi_u32 v26, v20, v26
	v_mul_hi_u32 v30, v20, v24
	v_add_co_u32_e32 v26, vcc, v26, v31
	v_addc_co_u32_e32 v30, vcc, 0, v30, vcc
	v_add_co_u32_e32 v26, vcc, v26, v29
	v_mul_hi_u32 v25, v21, v24
	v_addc_co_u32_e32 v26, vcc, v30, v27, vcc
	v_addc_co_u32_e32 v25, vcc, 0, v25, vcc
	v_mul_lo_u32 v24, v21, v24
	v_add_co_u32_e32 v24, vcc, v26, v24
	v_addc_co_u32_e32 v25, vcc, 0, v25, vcc
	v_add_co_u32_e32 v24, vcc, v20, v24
	v_addc_co_u32_e32 v25, vcc, v21, v25, vcc
	v_mad_u64_u32 v[20:21], s[4:5], v22, v25, 0
	v_mul_hi_u32 v26, v22, v24
	v_add_co_u32_e32 v26, vcc, v26, v20
	v_addc_co_u32_e32 v27, vcc, 0, v21, vcc
	v_mad_u64_u32 v[20:21], s[4:5], v23, v25, 0
	v_mad_u64_u32 v[24:25], s[4:5], v23, v24, 0
	v_add_co_u32_e32 v24, vcc, v26, v24
	v_addc_co_u32_e32 v24, vcc, v27, v25, vcc
	v_addc_co_u32_e32 v21, vcc, 0, v21, vcc
	v_add_co_u32_e32 v24, vcc, v24, v20
	v_addc_co_u32_e32 v25, vcc, 0, v21, vcc
	v_mul_lo_u32 v26, s51, v24
	v_mul_lo_u32 v27, s50, v25
	v_mad_u64_u32 v[20:21], s[4:5], s50, v24, 0
	v_add3_u32 v21, v21, v27, v26
	v_sub_u32_e32 v26, v23, v21
	v_mov_b32_e32 v27, s51
	v_sub_co_u32_e32 v20, vcc, v22, v20
	v_subb_co_u32_e64 v22, s[4:5], v26, v27, vcc
	v_subrev_co_u32_e64 v26, s[4:5], s50, v20
	v_subbrev_co_u32_e64 v22, s[4:5], 0, v22, s[4:5]
	v_cmp_le_u32_e64 s[4:5], s51, v22
	v_cndmask_b32_e64 v27, 0, -1, s[4:5]
	v_cmp_le_u32_e64 s[4:5], s50, v26
	v_cndmask_b32_e64 v26, 0, -1, s[4:5]
	v_cmp_eq_u32_e64 s[4:5], s51, v22
	v_cndmask_b32_e64 v22, v27, v26, s[4:5]
	v_add_co_u32_e64 v26, s[4:5], 2, v24
	v_subb_co_u32_e32 v21, vcc, v23, v21, vcc
	v_addc_co_u32_e64 v27, s[4:5], 0, v25, s[4:5]
	v_cmp_le_u32_e32 vcc, s51, v21
	v_add_co_u32_e64 v29, s[4:5], 1, v24
	v_cndmask_b32_e64 v23, 0, -1, vcc
	v_cmp_le_u32_e32 vcc, s50, v20
	v_addc_co_u32_e64 v30, s[4:5], 0, v25, s[4:5]
	v_cndmask_b32_e64 v20, 0, -1, vcc
	v_cmp_eq_u32_e32 vcc, s51, v21
	v_cmp_ne_u32_e64 s[4:5], 0, v22
	v_cndmask_b32_e32 v20, v23, v20, vcc
	v_cndmask_b32_e64 v22, v30, v27, s[4:5]
	v_cmp_ne_u32_e32 vcc, 0, v20
	v_cndmask_b32_e64 v20, v29, v26, s[4:5]
	v_cndmask_b32_e32 v21, v25, v22, vcc
	v_cndmask_b32_e32 v20, v24, v20, vcc
                                        ; implicit-def: $vgpr22
.LBB17_183:
	s_andn2_saveexec_b64 s[4:5], s[6:7]
	s_cbranch_execz .LBB17_185
; %bb.184:
	v_cvt_f32_u32_e32 v20, s50
	s_sub_i32 s6, 0, s50
	v_rcp_iflag_f32_e32 v20, v20
	v_mul_f32_e32 v20, 0x4f7ffffe, v20
	v_cvt_u32_f32_e32 v20, v20
	v_mul_lo_u32 v21, s6, v20
	v_mul_hi_u32 v21, v20, v21
	v_add_u32_e32 v20, v20, v21
	v_mul_hi_u32 v20, v22, v20
	v_mul_lo_u32 v21, v20, s50
	v_sub_u32_e32 v21, v22, v21
	v_add_u32_e32 v23, 1, v20
	v_subrev_u32_e32 v22, s50, v21
	v_cmp_le_u32_e32 vcc, s50, v21
	v_cndmask_b32_e32 v21, v21, v22, vcc
	v_cndmask_b32_e32 v20, v20, v23, vcc
	v_add_u32_e32 v22, 1, v20
	v_cmp_le_u32_e32 vcc, s50, v21
	v_cndmask_b32_e32 v20, v20, v22, vcc
	v_mov_b32_e32 v21, 0
.LBB17_185:
	s_or_b64 exec, exec, s[4:5]
	v_add_co_u32_e32 v24, vcc, 0xa00, v28
	v_addc_co_u32_e32 v25, vcc, 0, v1, vcc
	v_or_b32_e32 v23, s51, v25
	v_mov_b32_e32 v22, 0
	v_cmp_ne_u64_e32 vcc, 0, v[22:23]
                                        ; implicit-def: $vgpr22_vgpr23
	s_and_saveexec_b64 s[4:5], vcc
	s_xor_b64 s[6:7], exec, s[4:5]
	s_cbranch_execz .LBB17_187
; %bb.186:
	v_cvt_f32_u32_e32 v22, s50
	v_cvt_f32_u32_e32 v23, s51
	s_sub_u32 s4, 0, s50
	s_subb_u32 s5, 0, s51
	v_madmk_f32 v22, v23, 0x4f800000, v22
	v_rcp_f32_e32 v22, v22
	v_mul_f32_e32 v22, 0x5f7ffffc, v22
	v_mul_f32_e32 v23, 0x2f800000, v22
	v_trunc_f32_e32 v23, v23
	v_madmk_f32 v22, v23, 0xcf800000, v22
	v_cvt_u32_f32_e32 v23, v23
	v_cvt_u32_f32_e32 v22, v22
	v_mul_lo_u32 v26, s4, v23
	v_mul_hi_u32 v29, s4, v22
	v_mul_lo_u32 v27, s5, v22
	v_add_u32_e32 v26, v29, v26
	v_mul_lo_u32 v30, s4, v22
	v_add_u32_e32 v26, v26, v27
	v_mul_hi_u32 v29, v22, v30
	v_mul_lo_u32 v31, v22, v26
	v_mul_hi_u32 v27, v22, v26
	v_add_co_u32_e32 v29, vcc, v29, v31
	v_addc_co_u32_e32 v27, vcc, 0, v27, vcc
	v_mul_hi_u32 v32, v23, v30
	v_mul_lo_u32 v30, v23, v30
	v_add_co_u32_e32 v29, vcc, v29, v30
	v_mul_hi_u32 v31, v23, v26
	v_addc_co_u32_e32 v27, vcc, v27, v32, vcc
	v_addc_co_u32_e32 v29, vcc, 0, v31, vcc
	v_mul_lo_u32 v26, v23, v26
	v_add_co_u32_e32 v26, vcc, v27, v26
	v_addc_co_u32_e32 v27, vcc, 0, v29, vcc
	v_add_co_u32_e32 v22, vcc, v22, v26
	v_addc_co_u32_e32 v23, vcc, v23, v27, vcc
	v_mul_lo_u32 v26, s4, v23
	v_mul_hi_u32 v27, s4, v22
	v_add_u32_e32 v26, v27, v26
	v_mul_lo_u32 v27, s5, v22
	v_add_u32_e32 v26, v26, v27
	v_mul_lo_u32 v29, s4, v22
	v_mul_hi_u32 v30, v23, v29
	v_mul_lo_u32 v31, v23, v29
	v_mul_lo_u32 v33, v22, v26
	v_mul_hi_u32 v29, v22, v29
	v_mul_hi_u32 v32, v22, v26
	v_add_co_u32_e32 v29, vcc, v29, v33
	v_addc_co_u32_e32 v32, vcc, 0, v32, vcc
	v_add_co_u32_e32 v29, vcc, v29, v31
	v_mul_hi_u32 v27, v23, v26
	v_addc_co_u32_e32 v29, vcc, v32, v30, vcc
	v_addc_co_u32_e32 v27, vcc, 0, v27, vcc
	v_mul_lo_u32 v26, v23, v26
	v_add_co_u32_e32 v26, vcc, v29, v26
	v_addc_co_u32_e32 v27, vcc, 0, v27, vcc
	v_add_co_u32_e32 v26, vcc, v22, v26
	v_addc_co_u32_e32 v27, vcc, v23, v27, vcc
	v_mad_u64_u32 v[22:23], s[4:5], v24, v27, 0
	v_mul_hi_u32 v29, v24, v26
	v_add_co_u32_e32 v29, vcc, v29, v22
	v_addc_co_u32_e32 v30, vcc, 0, v23, vcc
	v_mad_u64_u32 v[22:23], s[4:5], v25, v27, 0
	v_mad_u64_u32 v[26:27], s[4:5], v25, v26, 0
	v_add_co_u32_e32 v26, vcc, v29, v26
	v_addc_co_u32_e32 v26, vcc, v30, v27, vcc
	v_addc_co_u32_e32 v23, vcc, 0, v23, vcc
	v_add_co_u32_e32 v26, vcc, v26, v22
	v_addc_co_u32_e32 v27, vcc, 0, v23, vcc
	v_mul_lo_u32 v29, s51, v26
	v_mul_lo_u32 v30, s50, v27
	v_mad_u64_u32 v[22:23], s[4:5], s50, v26, 0
	v_add3_u32 v23, v23, v30, v29
	v_sub_u32_e32 v29, v25, v23
	v_mov_b32_e32 v30, s51
	v_sub_co_u32_e32 v22, vcc, v24, v22
	v_subb_co_u32_e64 v24, s[4:5], v29, v30, vcc
	v_subrev_co_u32_e64 v29, s[4:5], s50, v22
	v_subbrev_co_u32_e64 v24, s[4:5], 0, v24, s[4:5]
	v_cmp_le_u32_e64 s[4:5], s51, v24
	v_cndmask_b32_e64 v30, 0, -1, s[4:5]
	v_cmp_le_u32_e64 s[4:5], s50, v29
	v_cndmask_b32_e64 v29, 0, -1, s[4:5]
	v_cmp_eq_u32_e64 s[4:5], s51, v24
	v_cndmask_b32_e64 v24, v30, v29, s[4:5]
	v_add_co_u32_e64 v29, s[4:5], 2, v26
	v_subb_co_u32_e32 v23, vcc, v25, v23, vcc
	v_addc_co_u32_e64 v30, s[4:5], 0, v27, s[4:5]
	v_cmp_le_u32_e32 vcc, s51, v23
	v_add_co_u32_e64 v31, s[4:5], 1, v26
	v_cndmask_b32_e64 v25, 0, -1, vcc
	v_cmp_le_u32_e32 vcc, s50, v22
	v_addc_co_u32_e64 v32, s[4:5], 0, v27, s[4:5]
	v_cndmask_b32_e64 v22, 0, -1, vcc
	v_cmp_eq_u32_e32 vcc, s51, v23
	v_cmp_ne_u32_e64 s[4:5], 0, v24
	v_cndmask_b32_e32 v22, v25, v22, vcc
	v_cndmask_b32_e64 v24, v32, v30, s[4:5]
	v_cmp_ne_u32_e32 vcc, 0, v22
	v_cndmask_b32_e64 v22, v31, v29, s[4:5]
	v_cndmask_b32_e32 v23, v27, v24, vcc
	v_cndmask_b32_e32 v22, v26, v22, vcc
                                        ; implicit-def: $vgpr24
.LBB17_187:
	s_andn2_saveexec_b64 s[4:5], s[6:7]
	s_cbranch_execz .LBB17_189
; %bb.188:
	v_cvt_f32_u32_e32 v22, s50
	s_sub_i32 s6, 0, s50
	v_rcp_iflag_f32_e32 v22, v22
	v_mul_f32_e32 v22, 0x4f7ffffe, v22
	v_cvt_u32_f32_e32 v22, v22
	v_mul_lo_u32 v23, s6, v22
	v_mul_hi_u32 v23, v22, v23
	v_add_u32_e32 v22, v22, v23
	v_mul_hi_u32 v22, v24, v22
	v_mul_lo_u32 v23, v22, s50
	v_sub_u32_e32 v23, v24, v23
	v_add_u32_e32 v25, 1, v22
	v_subrev_u32_e32 v24, s50, v23
	v_cmp_le_u32_e32 vcc, s50, v23
	v_cndmask_b32_e32 v23, v23, v24, vcc
	v_cndmask_b32_e32 v22, v22, v25, vcc
	v_add_u32_e32 v24, 1, v22
	v_cmp_le_u32_e32 vcc, s50, v23
	v_cndmask_b32_e32 v22, v22, v24, vcc
	v_mov_b32_e32 v23, 0
.LBB17_189:
	s_or_b64 exec, exec, s[4:5]
	v_add_co_u32_e32 v26, vcc, 0xb00, v28
	v_addc_co_u32_e32 v27, vcc, 0, v1, vcc
	v_or_b32_e32 v25, s51, v27
	v_mov_b32_e32 v24, 0
	v_cmp_ne_u64_e32 vcc, 0, v[24:25]
                                        ; implicit-def: $vgpr24_vgpr25
	s_and_saveexec_b64 s[4:5], vcc
	s_xor_b64 s[6:7], exec, s[4:5]
	s_cbranch_execz .LBB17_191
; %bb.190:
	v_cvt_f32_u32_e32 v24, s50
	v_cvt_f32_u32_e32 v25, s51
	s_sub_u32 s4, 0, s50
	s_subb_u32 s5, 0, s51
	v_madmk_f32 v24, v25, 0x4f800000, v24
	v_rcp_f32_e32 v24, v24
	v_mul_f32_e32 v24, 0x5f7ffffc, v24
	v_mul_f32_e32 v25, 0x2f800000, v24
	v_trunc_f32_e32 v25, v25
	v_madmk_f32 v24, v25, 0xcf800000, v24
	v_cvt_u32_f32_e32 v25, v25
	v_cvt_u32_f32_e32 v24, v24
	v_mul_lo_u32 v29, s4, v25
	v_mul_hi_u32 v31, s4, v24
	v_mul_lo_u32 v30, s5, v24
	v_add_u32_e32 v29, v31, v29
	v_mul_lo_u32 v32, s4, v24
	v_add_u32_e32 v29, v29, v30
	v_mul_hi_u32 v31, v24, v32
	v_mul_lo_u32 v33, v24, v29
	v_mul_hi_u32 v30, v24, v29
	v_add_co_u32_e32 v31, vcc, v31, v33
	v_addc_co_u32_e32 v30, vcc, 0, v30, vcc
	v_mul_hi_u32 v34, v25, v32
	v_mul_lo_u32 v32, v25, v32
	v_add_co_u32_e32 v31, vcc, v31, v32
	v_mul_hi_u32 v33, v25, v29
	v_addc_co_u32_e32 v30, vcc, v30, v34, vcc
	v_addc_co_u32_e32 v31, vcc, 0, v33, vcc
	v_mul_lo_u32 v29, v25, v29
	v_add_co_u32_e32 v29, vcc, v30, v29
	v_addc_co_u32_e32 v30, vcc, 0, v31, vcc
	v_add_co_u32_e32 v24, vcc, v24, v29
	v_addc_co_u32_e32 v25, vcc, v25, v30, vcc
	v_mul_lo_u32 v29, s4, v25
	v_mul_hi_u32 v30, s4, v24
	v_add_u32_e32 v29, v30, v29
	v_mul_lo_u32 v30, s5, v24
	v_add_u32_e32 v29, v29, v30
	v_mul_lo_u32 v31, s4, v24
	v_mul_hi_u32 v32, v25, v31
	v_mul_lo_u32 v33, v25, v31
	v_mul_lo_u32 v35, v24, v29
	v_mul_hi_u32 v31, v24, v31
	v_mul_hi_u32 v34, v24, v29
	v_add_co_u32_e32 v31, vcc, v31, v35
	v_addc_co_u32_e32 v34, vcc, 0, v34, vcc
	v_add_co_u32_e32 v31, vcc, v31, v33
	v_mul_hi_u32 v30, v25, v29
	v_addc_co_u32_e32 v31, vcc, v34, v32, vcc
	v_addc_co_u32_e32 v30, vcc, 0, v30, vcc
	v_mul_lo_u32 v29, v25, v29
	v_add_co_u32_e32 v29, vcc, v31, v29
	v_addc_co_u32_e32 v30, vcc, 0, v30, vcc
	v_add_co_u32_e32 v29, vcc, v24, v29
	v_addc_co_u32_e32 v30, vcc, v25, v30, vcc
	v_mad_u64_u32 v[24:25], s[4:5], v26, v30, 0
	v_mul_hi_u32 v31, v26, v29
	v_add_co_u32_e32 v32, vcc, v31, v24
	v_addc_co_u32_e32 v33, vcc, 0, v25, vcc
	v_mad_u64_u32 v[24:25], s[4:5], v27, v30, 0
	v_mad_u64_u32 v[30:31], s[4:5], v27, v29, 0
	v_add_co_u32_e32 v29, vcc, v32, v30
	v_addc_co_u32_e32 v29, vcc, v33, v31, vcc
	v_addc_co_u32_e32 v25, vcc, 0, v25, vcc
	v_add_co_u32_e32 v29, vcc, v29, v24
	v_addc_co_u32_e32 v30, vcc, 0, v25, vcc
	v_mul_lo_u32 v31, s51, v29
	v_mul_lo_u32 v32, s50, v30
	v_mad_u64_u32 v[24:25], s[4:5], s50, v29, 0
	v_add3_u32 v25, v25, v32, v31
	v_sub_u32_e32 v31, v27, v25
	v_mov_b32_e32 v32, s51
	v_sub_co_u32_e32 v24, vcc, v26, v24
	v_subb_co_u32_e64 v26, s[4:5], v31, v32, vcc
	v_subrev_co_u32_e64 v31, s[4:5], s50, v24
	v_subbrev_co_u32_e64 v26, s[4:5], 0, v26, s[4:5]
	v_cmp_le_u32_e64 s[4:5], s51, v26
	v_cndmask_b32_e64 v32, 0, -1, s[4:5]
	v_cmp_le_u32_e64 s[4:5], s50, v31
	v_cndmask_b32_e64 v31, 0, -1, s[4:5]
	v_cmp_eq_u32_e64 s[4:5], s51, v26
	v_cndmask_b32_e64 v26, v32, v31, s[4:5]
	v_add_co_u32_e64 v31, s[4:5], 2, v29
	v_subb_co_u32_e32 v25, vcc, v27, v25, vcc
	v_addc_co_u32_e64 v32, s[4:5], 0, v30, s[4:5]
	v_cmp_le_u32_e32 vcc, s51, v25
	v_add_co_u32_e64 v33, s[4:5], 1, v29
	v_cndmask_b32_e64 v27, 0, -1, vcc
	v_cmp_le_u32_e32 vcc, s50, v24
	v_addc_co_u32_e64 v34, s[4:5], 0, v30, s[4:5]
	v_cndmask_b32_e64 v24, 0, -1, vcc
	v_cmp_eq_u32_e32 vcc, s51, v25
	v_cmp_ne_u32_e64 s[4:5], 0, v26
	v_cndmask_b32_e32 v24, v27, v24, vcc
	v_cndmask_b32_e64 v26, v34, v32, s[4:5]
	v_cmp_ne_u32_e32 vcc, 0, v24
	v_cndmask_b32_e64 v24, v33, v31, s[4:5]
	v_cndmask_b32_e32 v25, v30, v26, vcc
	v_cndmask_b32_e32 v24, v29, v24, vcc
                                        ; implicit-def: $vgpr26
.LBB17_191:
	s_andn2_saveexec_b64 s[4:5], s[6:7]
	s_cbranch_execz .LBB17_193
; %bb.192:
	v_cvt_f32_u32_e32 v24, s50
	s_sub_i32 s6, 0, s50
	v_rcp_iflag_f32_e32 v24, v24
	v_mul_f32_e32 v24, 0x4f7ffffe, v24
	v_cvt_u32_f32_e32 v24, v24
	v_mul_lo_u32 v25, s6, v24
	v_mul_hi_u32 v25, v24, v25
	v_add_u32_e32 v24, v24, v25
	v_mul_hi_u32 v24, v26, v24
	v_mul_lo_u32 v25, v24, s50
	v_sub_u32_e32 v25, v26, v25
	v_add_u32_e32 v27, 1, v24
	v_subrev_u32_e32 v26, s50, v25
	v_cmp_le_u32_e32 vcc, s50, v25
	v_cndmask_b32_e32 v25, v25, v26, vcc
	v_cndmask_b32_e32 v24, v24, v27, vcc
	v_add_u32_e32 v26, 1, v24
	v_cmp_le_u32_e32 vcc, s50, v25
	v_cndmask_b32_e32 v24, v24, v26, vcc
	v_mov_b32_e32 v25, 0
.LBB17_193:
	s_or_b64 exec, exec, s[4:5]
	v_add_co_u32_e32 v29, vcc, 0xc00, v28
	v_addc_co_u32_e32 v30, vcc, 0, v1, vcc
	v_or_b32_e32 v27, s51, v30
	v_mov_b32_e32 v26, 0
	v_cmp_ne_u64_e32 vcc, 0, v[26:27]
                                        ; implicit-def: $vgpr26_vgpr27
	s_and_saveexec_b64 s[4:5], vcc
	s_xor_b64 s[6:7], exec, s[4:5]
	s_cbranch_execz .LBB17_195
; %bb.194:
	v_cvt_f32_u32_e32 v26, s50
	v_cvt_f32_u32_e32 v27, s51
	s_sub_u32 s4, 0, s50
	s_subb_u32 s5, 0, s51
	v_madmk_f32 v26, v27, 0x4f800000, v26
	v_rcp_f32_e32 v26, v26
	v_mul_f32_e32 v26, 0x5f7ffffc, v26
	v_mul_f32_e32 v27, 0x2f800000, v26
	v_trunc_f32_e32 v27, v27
	v_madmk_f32 v26, v27, 0xcf800000, v26
	v_cvt_u32_f32_e32 v27, v27
	v_cvt_u32_f32_e32 v26, v26
	v_mul_lo_u32 v31, s4, v27
	v_mul_hi_u32 v33, s4, v26
	v_mul_lo_u32 v32, s5, v26
	v_add_u32_e32 v31, v33, v31
	v_mul_lo_u32 v34, s4, v26
	v_add_u32_e32 v31, v31, v32
	v_mul_hi_u32 v33, v26, v34
	v_mul_lo_u32 v35, v26, v31
	v_mul_hi_u32 v32, v26, v31
	v_add_co_u32_e32 v33, vcc, v33, v35
	v_addc_co_u32_e32 v32, vcc, 0, v32, vcc
	v_mul_hi_u32 v36, v27, v34
	v_mul_lo_u32 v34, v27, v34
	v_add_co_u32_e32 v33, vcc, v33, v34
	v_mul_hi_u32 v35, v27, v31
	v_addc_co_u32_e32 v32, vcc, v32, v36, vcc
	v_addc_co_u32_e32 v33, vcc, 0, v35, vcc
	v_mul_lo_u32 v31, v27, v31
	v_add_co_u32_e32 v31, vcc, v32, v31
	v_addc_co_u32_e32 v32, vcc, 0, v33, vcc
	v_add_co_u32_e32 v26, vcc, v26, v31
	v_addc_co_u32_e32 v27, vcc, v27, v32, vcc
	v_mul_lo_u32 v31, s4, v27
	v_mul_hi_u32 v32, s4, v26
	v_add_u32_e32 v31, v32, v31
	v_mul_lo_u32 v32, s5, v26
	v_add_u32_e32 v31, v31, v32
	v_mul_lo_u32 v33, s4, v26
	v_mul_hi_u32 v34, v27, v33
	v_mul_lo_u32 v35, v27, v33
	v_mul_lo_u32 v37, v26, v31
	v_mul_hi_u32 v33, v26, v33
	v_mul_hi_u32 v36, v26, v31
	v_add_co_u32_e32 v33, vcc, v33, v37
	v_addc_co_u32_e32 v36, vcc, 0, v36, vcc
	v_add_co_u32_e32 v33, vcc, v33, v35
	v_mul_hi_u32 v32, v27, v31
	v_addc_co_u32_e32 v33, vcc, v36, v34, vcc
	v_addc_co_u32_e32 v32, vcc, 0, v32, vcc
	v_mul_lo_u32 v31, v27, v31
	v_add_co_u32_e32 v31, vcc, v33, v31
	v_addc_co_u32_e32 v32, vcc, 0, v32, vcc
	v_add_co_u32_e32 v31, vcc, v26, v31
	v_addc_co_u32_e32 v32, vcc, v27, v32, vcc
	v_mad_u64_u32 v[26:27], s[4:5], v29, v32, 0
	v_mul_hi_u32 v33, v29, v31
	v_add_co_u32_e32 v34, vcc, v33, v26
	v_addc_co_u32_e32 v35, vcc, 0, v27, vcc
	v_mad_u64_u32 v[26:27], s[4:5], v30, v32, 0
	v_mad_u64_u32 v[32:33], s[4:5], v30, v31, 0
	v_add_co_u32_e32 v31, vcc, v34, v32
	v_addc_co_u32_e32 v31, vcc, v35, v33, vcc
	v_addc_co_u32_e32 v27, vcc, 0, v27, vcc
	v_add_co_u32_e32 v31, vcc, v31, v26
	v_addc_co_u32_e32 v32, vcc, 0, v27, vcc
	v_mul_lo_u32 v33, s51, v31
	v_mul_lo_u32 v34, s50, v32
	v_mad_u64_u32 v[26:27], s[4:5], s50, v31, 0
	v_add3_u32 v27, v27, v34, v33
	v_sub_u32_e32 v33, v30, v27
	v_mov_b32_e32 v34, s51
	v_sub_co_u32_e32 v26, vcc, v29, v26
	v_subb_co_u32_e64 v29, s[4:5], v33, v34, vcc
	v_subrev_co_u32_e64 v33, s[4:5], s50, v26
	v_subbrev_co_u32_e64 v29, s[4:5], 0, v29, s[4:5]
	v_cmp_le_u32_e64 s[4:5], s51, v29
	v_cndmask_b32_e64 v34, 0, -1, s[4:5]
	v_cmp_le_u32_e64 s[4:5], s50, v33
	v_cndmask_b32_e64 v33, 0, -1, s[4:5]
	v_cmp_eq_u32_e64 s[4:5], s51, v29
	v_cndmask_b32_e64 v29, v34, v33, s[4:5]
	v_add_co_u32_e64 v33, s[4:5], 2, v31
	v_subb_co_u32_e32 v27, vcc, v30, v27, vcc
	v_addc_co_u32_e64 v34, s[4:5], 0, v32, s[4:5]
	v_cmp_le_u32_e32 vcc, s51, v27
	v_add_co_u32_e64 v35, s[4:5], 1, v31
	v_cndmask_b32_e64 v30, 0, -1, vcc
	v_cmp_le_u32_e32 vcc, s50, v26
	v_addc_co_u32_e64 v36, s[4:5], 0, v32, s[4:5]
	v_cndmask_b32_e64 v26, 0, -1, vcc
	v_cmp_eq_u32_e32 vcc, s51, v27
	v_cmp_ne_u32_e64 s[4:5], 0, v29
	v_cndmask_b32_e32 v26, v30, v26, vcc
	v_cndmask_b32_e64 v29, v36, v34, s[4:5]
	v_cmp_ne_u32_e32 vcc, 0, v26
	v_cndmask_b32_e64 v26, v35, v33, s[4:5]
	v_cndmask_b32_e32 v27, v32, v29, vcc
	v_cndmask_b32_e32 v26, v31, v26, vcc
                                        ; implicit-def: $vgpr29
.LBB17_195:
	s_andn2_saveexec_b64 s[4:5], s[6:7]
	s_cbranch_execz .LBB17_197
; %bb.196:
	v_cvt_f32_u32_e32 v26, s50
	s_sub_i32 s6, 0, s50
	v_rcp_iflag_f32_e32 v26, v26
	v_mul_f32_e32 v26, 0x4f7ffffe, v26
	v_cvt_u32_f32_e32 v26, v26
	v_mul_lo_u32 v27, s6, v26
	v_mul_hi_u32 v27, v26, v27
	v_add_u32_e32 v26, v26, v27
	v_mul_hi_u32 v26, v29, v26
	v_mul_lo_u32 v27, v26, s50
	v_sub_u32_e32 v27, v29, v27
	v_add_u32_e32 v30, 1, v26
	v_subrev_u32_e32 v29, s50, v27
	v_cmp_le_u32_e32 vcc, s50, v27
	v_cndmask_b32_e32 v27, v27, v29, vcc
	v_cndmask_b32_e32 v26, v26, v30, vcc
	v_add_u32_e32 v29, 1, v26
	v_cmp_le_u32_e32 vcc, s50, v27
	v_cndmask_b32_e32 v26, v26, v29, vcc
	v_mov_b32_e32 v27, 0
.LBB17_197:
	s_or_b64 exec, exec, s[4:5]
	v_add_co_u32_e32 v30, vcc, 0xd00, v28
	v_addc_co_u32_e32 v1, vcc, 0, v1, vcc
	v_or_b32_e32 v29, s51, v1
	v_mov_b32_e32 v28, 0
	v_cmp_ne_u64_e32 vcc, 0, v[28:29]
                                        ; implicit-def: $vgpr28_vgpr29
	s_and_saveexec_b64 s[4:5], vcc
	s_xor_b64 s[6:7], exec, s[4:5]
	s_cbranch_execz .LBB17_199
; %bb.198:
	v_cvt_f32_u32_e32 v28, s50
	v_cvt_f32_u32_e32 v29, s51
	s_sub_u32 s4, 0, s50
	s_subb_u32 s5, 0, s51
	v_madmk_f32 v28, v29, 0x4f800000, v28
	v_rcp_f32_e32 v28, v28
	v_mul_f32_e32 v28, 0x5f7ffffc, v28
	v_mul_f32_e32 v29, 0x2f800000, v28
	v_trunc_f32_e32 v29, v29
	v_madmk_f32 v28, v29, 0xcf800000, v28
	v_cvt_u32_f32_e32 v29, v29
	v_cvt_u32_f32_e32 v28, v28
	v_mul_lo_u32 v31, s4, v29
	v_mul_hi_u32 v33, s4, v28
	v_mul_lo_u32 v32, s5, v28
	v_add_u32_e32 v31, v33, v31
	v_mul_lo_u32 v34, s4, v28
	v_add_u32_e32 v31, v31, v32
	v_mul_hi_u32 v33, v28, v34
	v_mul_lo_u32 v35, v28, v31
	v_mul_hi_u32 v32, v28, v31
	v_add_co_u32_e32 v33, vcc, v33, v35
	v_addc_co_u32_e32 v32, vcc, 0, v32, vcc
	v_mul_hi_u32 v36, v29, v34
	v_mul_lo_u32 v34, v29, v34
	v_add_co_u32_e32 v33, vcc, v33, v34
	v_mul_hi_u32 v35, v29, v31
	v_addc_co_u32_e32 v32, vcc, v32, v36, vcc
	v_addc_co_u32_e32 v33, vcc, 0, v35, vcc
	v_mul_lo_u32 v31, v29, v31
	v_add_co_u32_e32 v31, vcc, v32, v31
	v_addc_co_u32_e32 v32, vcc, 0, v33, vcc
	v_add_co_u32_e32 v28, vcc, v28, v31
	v_addc_co_u32_e32 v29, vcc, v29, v32, vcc
	v_mul_lo_u32 v31, s4, v29
	v_mul_hi_u32 v32, s4, v28
	v_add_u32_e32 v31, v32, v31
	v_mul_lo_u32 v32, s5, v28
	v_add_u32_e32 v31, v31, v32
	v_mul_lo_u32 v33, s4, v28
	v_mul_hi_u32 v34, v29, v33
	v_mul_lo_u32 v35, v29, v33
	v_mul_lo_u32 v37, v28, v31
	v_mul_hi_u32 v33, v28, v33
	v_mul_hi_u32 v36, v28, v31
	v_add_co_u32_e32 v33, vcc, v33, v37
	v_addc_co_u32_e32 v36, vcc, 0, v36, vcc
	v_add_co_u32_e32 v33, vcc, v33, v35
	v_mul_hi_u32 v32, v29, v31
	v_addc_co_u32_e32 v33, vcc, v36, v34, vcc
	v_addc_co_u32_e32 v32, vcc, 0, v32, vcc
	v_mul_lo_u32 v31, v29, v31
	v_add_co_u32_e32 v31, vcc, v33, v31
	v_addc_co_u32_e32 v32, vcc, 0, v32, vcc
	v_add_co_u32_e32 v31, vcc, v28, v31
	v_addc_co_u32_e32 v32, vcc, v29, v32, vcc
	v_mad_u64_u32 v[28:29], s[4:5], v30, v32, 0
	v_mul_hi_u32 v33, v30, v31
	v_add_co_u32_e32 v34, vcc, v33, v28
	v_addc_co_u32_e32 v35, vcc, 0, v29, vcc
	v_mad_u64_u32 v[28:29], s[4:5], v1, v32, 0
	v_mad_u64_u32 v[32:33], s[4:5], v1, v31, 0
	v_add_co_u32_e32 v31, vcc, v34, v32
	v_addc_co_u32_e32 v31, vcc, v35, v33, vcc
	v_addc_co_u32_e32 v29, vcc, 0, v29, vcc
	v_add_co_u32_e32 v31, vcc, v31, v28
	v_addc_co_u32_e32 v32, vcc, 0, v29, vcc
	v_mul_lo_u32 v33, s51, v31
	v_mul_lo_u32 v34, s50, v32
	v_mad_u64_u32 v[28:29], s[4:5], s50, v31, 0
	v_add3_u32 v29, v29, v34, v33
	v_sub_u32_e32 v33, v1, v29
	v_mov_b32_e32 v34, s51
	v_sub_co_u32_e32 v28, vcc, v30, v28
	v_subb_co_u32_e64 v30, s[4:5], v33, v34, vcc
	v_subrev_co_u32_e64 v33, s[4:5], s50, v28
	v_subbrev_co_u32_e64 v30, s[4:5], 0, v30, s[4:5]
	v_cmp_le_u32_e64 s[4:5], s51, v30
	v_cndmask_b32_e64 v34, 0, -1, s[4:5]
	v_cmp_le_u32_e64 s[4:5], s50, v33
	v_cndmask_b32_e64 v33, 0, -1, s[4:5]
	v_cmp_eq_u32_e64 s[4:5], s51, v30
	v_cndmask_b32_e64 v30, v34, v33, s[4:5]
	v_add_co_u32_e64 v33, s[4:5], 2, v31
	v_subb_co_u32_e32 v1, vcc, v1, v29, vcc
	v_addc_co_u32_e64 v34, s[4:5], 0, v32, s[4:5]
	v_cmp_le_u32_e32 vcc, s51, v1
	v_add_co_u32_e64 v35, s[4:5], 1, v31
	v_cndmask_b32_e64 v29, 0, -1, vcc
	v_cmp_le_u32_e32 vcc, s50, v28
	v_addc_co_u32_e64 v36, s[4:5], 0, v32, s[4:5]
	v_cndmask_b32_e64 v28, 0, -1, vcc
	v_cmp_eq_u32_e32 vcc, s51, v1
	v_cmp_ne_u32_e64 s[4:5], 0, v30
	v_cndmask_b32_e32 v1, v29, v28, vcc
	v_cndmask_b32_e64 v30, v36, v34, s[4:5]
	v_cmp_ne_u32_e32 vcc, 0, v1
	v_cndmask_b32_e64 v1, v35, v33, s[4:5]
	v_cndmask_b32_e32 v29, v32, v30, vcc
	v_cndmask_b32_e32 v28, v31, v1, vcc
                                        ; implicit-def: $vgpr30
.LBB17_199:
	s_andn2_saveexec_b64 s[4:5], s[6:7]
	s_cbranch_execz .LBB17_201
; %bb.200:
	v_cvt_f32_u32_e32 v1, s50
	s_sub_i32 s6, 0, s50
	v_rcp_iflag_f32_e32 v1, v1
	v_mul_f32_e32 v1, 0x4f7ffffe, v1
	v_cvt_u32_f32_e32 v1, v1
	v_mul_lo_u32 v28, s6, v1
	v_mul_hi_u32 v28, v1, v28
	v_add_u32_e32 v1, v1, v28
	v_mul_hi_u32 v1, v30, v1
	v_mul_lo_u32 v28, v1, s50
	v_sub_u32_e32 v28, v30, v28
	v_add_u32_e32 v29, 1, v1
	v_subrev_u32_e32 v30, s50, v28
	v_cmp_le_u32_e32 vcc, s50, v28
	v_cndmask_b32_e32 v28, v28, v30, vcc
	v_cndmask_b32_e32 v1, v1, v29, vcc
	v_add_u32_e32 v29, 1, v1
	v_cmp_le_u32_e32 vcc, s50, v28
	v_cndmask_b32_e32 v28, v1, v29, vcc
	v_mov_b32_e32 v29, 0
.LBB17_201:
	s_or_b64 exec, exec, s[4:5]
	v_lshlrev_b32_e32 v1, 3, v0
	s_movk_i32 s4, 0x68
	ds_write2st64_b64 v1, v[2:3], v[4:5] offset1:4
	ds_write2st64_b64 v1, v[6:7], v[8:9] offset0:8 offset1:12
	ds_write2st64_b64 v1, v[10:11], v[12:13] offset0:16 offset1:20
	;; [unrolled: 1-line block ×6, first 2 shown]
	v_mad_u32_u24 v1, v0, s4, v1
	s_waitcnt lgkmcnt(0)
	s_barrier
	ds_read_b128 v[14:17], v1
	ds_read_b128 v[2:5], v1 offset:16
	ds_read_b128 v[30:33], v1 offset:32
	;; [unrolled: 1-line block ×6, first 2 shown]
	s_cmp_eq_u64 s[62:63], 0
	s_cbranch_scc1 .LBB17_217
; %bb.202:
	s_andn2_b64 vcc, exec, s[54:55]
	s_cbranch_vccnz .LBB17_218
; %bb.203:
	s_lshl_b64 s[4:5], s[62:63], 3
	s_add_u32 s4, s46, s4
	s_addc_u32 s5, s47, s5
	s_add_u32 s4, s4, -8
	s_addc_u32 s5, s5, -1
	s_load_dwordx2 s[4:5], s[4:5], 0x0
	s_waitcnt lgkmcnt(0)
	v_pk_mov_b32 v[6:7], s[4:5], s[4:5] op_sel:[0,1]
	s_cbranch_execz .LBB17_219
	s_branch .LBB17_222
.LBB17_204:
	v_lshlrev_b32_e32 v3, 2, v0
	v_mov_b32_e32 v5, s67
	v_add_co_u32_e32 v4, vcc, s66, v3
	v_addc_co_u32_e32 v5, vcc, 0, v5, vcc
	flat_load_dword v3, v[4:5]
	s_or_b64 exec, exec, s[4:5]
                                        ; implicit-def: $vgpr4
	s_and_saveexec_b64 s[4:5], s[8:9]
	s_cbranch_execz .LBB17_105
.LBB17_205:
	v_lshlrev_b32_e32 v4, 2, v0
	v_mov_b32_e32 v5, s67
	v_add_co_u32_e32 v4, vcc, s66, v4
	v_addc_co_u32_e32 v5, vcc, 0, v5, vcc
	flat_load_dword v4, v[4:5] offset:1024
	s_or_b64 exec, exec, s[4:5]
                                        ; implicit-def: $vgpr5
	s_and_saveexec_b64 s[4:5], s[10:11]
	s_cbranch_execz .LBB17_106
.LBB17_206:
	v_lshlrev_b32_e32 v5, 2, v0
	v_mov_b32_e32 v7, s67
	v_add_co_u32_e32 v6, vcc, s66, v5
	v_addc_co_u32_e32 v7, vcc, 0, v7, vcc
	flat_load_dword v5, v[6:7] offset:2048
	s_or_b64 exec, exec, s[4:5]
                                        ; implicit-def: $vgpr6
	s_and_saveexec_b64 s[4:5], s[12:13]
	s_cbranch_execz .LBB17_107
.LBB17_207:
	v_lshlrev_b32_e32 v6, 2, v0
	v_mov_b32_e32 v7, s67
	v_add_co_u32_e32 v6, vcc, s66, v6
	v_addc_co_u32_e32 v7, vcc, 0, v7, vcc
	flat_load_dword v6, v[6:7] offset:3072
	s_or_b64 exec, exec, s[4:5]
                                        ; implicit-def: $vgpr7
	s_and_saveexec_b64 s[4:5], s[14:15]
	s_cbranch_execz .LBB17_108
.LBB17_208:
	v_lshlrev_b32_e32 v1, 2, v1
	v_mov_b32_e32 v7, s67
	v_add_co_u32_e32 v8, vcc, s66, v1
	v_addc_co_u32_e32 v9, vcc, 0, v7, vcc
	flat_load_dword v7, v[8:9]
	s_or_b64 exec, exec, s[4:5]
                                        ; implicit-def: $vgpr8
	s_and_saveexec_b64 s[4:5], s[16:17]
	s_cbranch_execz .LBB17_109
.LBB17_209:
	v_lshlrev_b32_e32 v1, 2, v56
	v_mov_b32_e32 v9, s67
	v_add_co_u32_e32 v8, vcc, s66, v1
	v_addc_co_u32_e32 v9, vcc, 0, v9, vcc
	flat_load_dword v8, v[8:9]
	s_or_b64 exec, exec, s[4:5]
                                        ; implicit-def: $vgpr9
	s_and_saveexec_b64 s[4:5], s[18:19]
	s_cbranch_execz .LBB17_110
.LBB17_210:
	v_lshlrev_b32_e32 v1, 2, v57
	v_mov_b32_e32 v9, s67
	v_add_co_u32_e32 v10, vcc, s66, v1
	v_addc_co_u32_e32 v11, vcc, 0, v9, vcc
	flat_load_dword v9, v[10:11]
	s_or_b64 exec, exec, s[4:5]
                                        ; implicit-def: $vgpr10
	s_and_saveexec_b64 s[4:5], s[20:21]
	s_cbranch_execz .LBB17_111
.LBB17_211:
	v_lshlrev_b32_e32 v1, 2, v58
	v_mov_b32_e32 v11, s67
	v_add_co_u32_e32 v10, vcc, s66, v1
	v_addc_co_u32_e32 v11, vcc, 0, v11, vcc
	flat_load_dword v10, v[10:11]
	s_or_b64 exec, exec, s[4:5]
                                        ; implicit-def: $vgpr11
	s_and_saveexec_b64 s[4:5], s[22:23]
	s_cbranch_execz .LBB17_112
.LBB17_212:
	v_lshlrev_b32_e32 v1, 2, v59
	v_mov_b32_e32 v11, s67
	v_add_co_u32_e32 v12, vcc, s66, v1
	v_addc_co_u32_e32 v13, vcc, 0, v11, vcc
	flat_load_dword v11, v[12:13]
	s_or_b64 exec, exec, s[4:5]
                                        ; implicit-def: $vgpr12
	s_and_saveexec_b64 s[4:5], s[24:25]
	s_cbranch_execz .LBB17_113
.LBB17_213:
	v_lshlrev_b32_e32 v1, 2, v60
	v_mov_b32_e32 v13, s67
	v_add_co_u32_e32 v12, vcc, s66, v1
	v_addc_co_u32_e32 v13, vcc, 0, v13, vcc
	flat_load_dword v12, v[12:13]
	s_or_b64 exec, exec, s[4:5]
                                        ; implicit-def: $vgpr13
	s_and_saveexec_b64 s[4:5], s[26:27]
	s_cbranch_execz .LBB17_114
.LBB17_214:
	v_lshlrev_b32_e32 v1, 2, v61
	v_mov_b32_e32 v13, s67
	v_add_co_u32_e32 v14, vcc, s66, v1
	v_addc_co_u32_e32 v15, vcc, 0, v13, vcc
	flat_load_dword v13, v[14:15]
	s_or_b64 exec, exec, s[4:5]
                                        ; implicit-def: $vgpr14
	s_and_saveexec_b64 s[4:5], s[28:29]
	s_cbranch_execz .LBB17_115
.LBB17_215:
	v_lshlrev_b32_e32 v1, 2, v62
	v_mov_b32_e32 v15, s67
	v_add_co_u32_e32 v14, vcc, s66, v1
	v_addc_co_u32_e32 v15, vcc, 0, v15, vcc
	flat_load_dword v14, v[14:15]
	s_or_b64 exec, exec, s[4:5]
                                        ; implicit-def: $vgpr15
	s_and_saveexec_b64 s[4:5], s[30:31]
	s_cbranch_execz .LBB17_116
.LBB17_216:
	v_lshlrev_b32_e32 v1, 2, v63
	v_mov_b32_e32 v15, s67
	v_add_co_u32_e32 v16, vcc, s66, v1
	v_addc_co_u32_e32 v17, vcc, 0, v15, vcc
	flat_load_dword v15, v[16:17]
	s_or_b64 exec, exec, s[4:5]
                                        ; implicit-def: $vgpr16
	s_and_saveexec_b64 s[4:5], s[34:35]
	s_cbranch_execnz .LBB17_117
	s_branch .LBB17_118
.LBB17_217:
                                        ; implicit-def: $vgpr6_vgpr7
	s_branch .LBB17_223
.LBB17_218:
                                        ; implicit-def: $sgpr4_sgpr5
	v_pk_mov_b32 v[6:7], s[4:5], s[4:5] op_sel:[0,1]
.LBB17_219:
	s_add_u32 s6, s52, -1
	s_addc_u32 s7, s53, -1
	s_or_b64 s[4:5], s[6:7], s[50:51]
	s_mov_b32 s4, 0
	s_cmp_lg_u64 s[4:5], 0
	s_mov_b64 s[8:9], -1
	s_cbranch_scc0 .LBB17_315
; %bb.220:
	v_cvt_f32_u32_e32 v6, s50
	v_cvt_f32_u32_e32 v7, s51
	s_sub_u32 s4, 0, s50
	s_subb_u32 s5, 0, s51
	v_madmk_f32 v6, v7, 0x4f800000, v6
	v_rcp_f32_e32 v6, v6
	v_mul_f32_e32 v6, 0x5f7ffffc, v6
	v_mul_f32_e32 v7, 0x2f800000, v6
	v_trunc_f32_e32 v7, v7
	v_madmk_f32 v6, v7, 0xcf800000, v6
	v_cvt_u32_f32_e32 v7, v7
	v_cvt_u32_f32_e32 v6, v6
	v_readfirstlane_b32 s10, v7
	v_readfirstlane_b32 s11, v6
	s_mul_i32 s12, s4, s10
	s_mul_hi_u32 s14, s4, s11
	s_mul_i32 s13, s5, s11
	s_add_i32 s12, s14, s12
	s_add_i32 s12, s12, s13
	s_mul_i32 s15, s4, s11
	s_mul_hi_u32 s13, s11, s12
	s_mul_i32 s14, s11, s12
	s_mul_hi_u32 s11, s11, s15
	s_add_u32 s11, s11, s14
	s_addc_u32 s13, 0, s13
	s_mul_hi_u32 s16, s10, s15
	s_mul_i32 s15, s10, s15
	s_add_u32 s11, s11, s15
	s_mul_hi_u32 s14, s10, s12
	s_addc_u32 s11, s13, s16
	s_addc_u32 s13, s14, 0
	s_mul_i32 s12, s10, s12
	s_add_u32 s11, s11, s12
	s_addc_u32 s12, 0, s13
	v_add_co_u32_e32 v6, vcc, s11, v6
	s_cmp_lg_u64 vcc, 0
	s_addc_u32 s10, s10, s12
	v_readfirstlane_b32 s12, v6
	s_mul_i32 s11, s4, s10
	s_mul_hi_u32 s13, s4, s12
	s_add_i32 s11, s13, s11
	s_mul_i32 s5, s5, s12
	s_add_i32 s11, s11, s5
	s_mul_i32 s4, s4, s12
	s_mul_hi_u32 s13, s10, s4
	s_mul_i32 s14, s10, s4
	s_mul_i32 s16, s12, s11
	s_mul_hi_u32 s4, s12, s4
	s_mul_hi_u32 s15, s12, s11
	s_add_u32 s4, s4, s16
	s_addc_u32 s12, 0, s15
	s_add_u32 s4, s4, s14
	s_mul_hi_u32 s5, s10, s11
	s_addc_u32 s4, s12, s13
	s_addc_u32 s5, s5, 0
	s_mul_i32 s11, s10, s11
	s_add_u32 s4, s4, s11
	s_addc_u32 s5, 0, s5
	v_add_co_u32_e32 v6, vcc, s4, v6
	s_cmp_lg_u64 vcc, 0
	s_addc_u32 s4, s10, s5
	v_readfirstlane_b32 s11, v6
	s_mul_i32 s10, s6, s4
	s_mul_hi_u32 s12, s6, s11
	s_mul_hi_u32 s5, s6, s4
	s_add_u32 s10, s12, s10
	s_addc_u32 s5, 0, s5
	s_mul_hi_u32 s13, s7, s11
	s_mul_i32 s11, s7, s11
	s_add_u32 s10, s10, s11
	s_mul_hi_u32 s12, s7, s4
	s_addc_u32 s5, s5, s13
	s_addc_u32 s10, s12, 0
	s_mul_i32 s4, s7, s4
	s_add_u32 s11, s5, s4
	s_addc_u32 s10, 0, s10
	s_mul_i32 s4, s50, s10
	s_mul_hi_u32 s5, s50, s11
	s_add_i32 s4, s5, s4
	s_mul_i32 s5, s51, s11
	s_add_i32 s12, s4, s5
	s_mul_i32 s5, s50, s11
	v_mov_b32_e32 v6, s5
	s_sub_i32 s4, s7, s12
	v_sub_co_u32_e32 v6, vcc, s6, v6
	s_cmp_lg_u64 vcc, 0
	s_subb_u32 s13, s4, s51
	v_subrev_co_u32_e64 v7, s[4:5], s50, v6
	s_cmp_lg_u64 s[4:5], 0
	s_subb_u32 s13, s13, 0
	s_cmp_ge_u32 s13, s51
	s_cselect_b32 s14, -1, 0
	v_cmp_le_u32_e64 s[4:5], s50, v7
	s_cmp_eq_u32 s13, s51
	v_cndmask_b32_e64 v7, 0, -1, s[4:5]
	v_mov_b32_e32 v8, s14
	s_cselect_b64 s[4:5], -1, 0
	v_cndmask_b32_e64 v7, v8, v7, s[4:5]
	s_add_u32 s4, s11, 1
	s_addc_u32 s13, s10, 0
	s_add_u32 s5, s11, 2
	s_addc_u32 s14, s10, 0
	v_mov_b32_e32 v8, s4
	v_mov_b32_e32 v9, s5
	v_cmp_ne_u32_e64 s[4:5], 0, v7
	v_cndmask_b32_e64 v8, v8, v9, s[4:5]
	v_mov_b32_e32 v7, s13
	v_mov_b32_e32 v9, s14
	s_cmp_lg_u64 vcc, 0
	v_cndmask_b32_e64 v7, v7, v9, s[4:5]
	s_subb_u32 s4, s7, s12
	s_cmp_ge_u32 s4, s51
	s_cselect_b32 s5, -1, 0
	v_cmp_le_u32_e32 vcc, s50, v6
	s_cmp_eq_u32 s4, s51
	v_cndmask_b32_e64 v6, 0, -1, vcc
	v_mov_b32_e32 v9, s5
	s_cselect_b64 vcc, -1, 0
	v_cndmask_b32_e32 v6, v9, v6, vcc
	v_mov_b32_e32 v9, s10
	v_cmp_ne_u32_e32 vcc, 0, v6
	v_mov_b32_e32 v6, s11
	v_cndmask_b32_e32 v7, v9, v7, vcc
	v_cndmask_b32_e32 v6, v6, v8, vcc
	s_cbranch_execnz .LBB17_222
.LBB17_221:
	v_cvt_f32_u32_e32 v6, s50
	s_sub_i32 s4, 0, s50
	s_mov_b32 s5, 0
	v_rcp_iflag_f32_e32 v6, v6
	v_mul_f32_e32 v6, 0x4f7ffffe, v6
	v_cvt_u32_f32_e32 v6, v6
	v_readfirstlane_b32 s7, v6
	s_mul_i32 s4, s4, s7
	s_mul_hi_u32 s4, s7, s4
	s_add_i32 s7, s7, s4
	s_mul_hi_u32 s4, s6, s7
	s_mul_i32 s8, s4, s50
	s_sub_i32 s6, s6, s8
	s_add_i32 s7, s4, 1
	s_sub_i32 s8, s6, s50
	s_cmp_ge_u32 s6, s50
	s_cselect_b32 s4, s7, s4
	s_cselect_b32 s6, s8, s6
	s_add_i32 s7, s4, 1
	s_cmp_ge_u32 s6, s50
	s_cselect_b32 s4, s7, s4
	v_pk_mov_b32 v[6:7], s[4:5], s[4:5] op_sel:[0,1]
.LBB17_222:
	s_cbranch_execnz .LBB17_226
.LBB17_223:
	s_or_b64 s[4:5], s[52:53], s[50:51]
	s_mov_b32 s4, 0
	s_cmp_lg_u64 s[4:5], 0
	s_cbranch_scc0 .LBB17_313
; %bb.224:
	v_cvt_f32_u32_e32 v6, s50
	v_cvt_f32_u32_e32 v7, s51
	s_sub_u32 s4, 0, s50
	s_subb_u32 s5, 0, s51
	v_madmk_f32 v6, v7, 0x4f800000, v6
	v_rcp_f32_e32 v6, v6
	v_mul_f32_e32 v6, 0x5f7ffffc, v6
	v_mul_f32_e32 v7, 0x2f800000, v6
	v_trunc_f32_e32 v7, v7
	v_madmk_f32 v6, v7, 0xcf800000, v6
	v_cvt_u32_f32_e32 v7, v7
	v_cvt_u32_f32_e32 v6, v6
	v_readfirstlane_b32 s8, v7
	v_readfirstlane_b32 s9, v6
	s_mul_i32 s10, s4, s8
	s_mul_hi_u32 s12, s4, s9
	s_mul_i32 s11, s5, s9
	s_add_i32 s10, s12, s10
	s_add_i32 s10, s10, s11
	s_mul_i32 s13, s4, s9
	s_mul_hi_u32 s11, s9, s10
	s_mul_i32 s12, s9, s10
	s_mul_hi_u32 s9, s9, s13
	s_add_u32 s9, s9, s12
	s_addc_u32 s11, 0, s11
	s_mul_hi_u32 s14, s8, s13
	s_mul_i32 s13, s8, s13
	s_add_u32 s9, s9, s13
	s_mul_hi_u32 s12, s8, s10
	s_addc_u32 s9, s11, s14
	s_addc_u32 s11, s12, 0
	s_mul_i32 s10, s8, s10
	s_add_u32 s9, s9, s10
	s_addc_u32 s10, 0, s11
	v_add_co_u32_e32 v6, vcc, s9, v6
	s_cmp_lg_u64 vcc, 0
	s_addc_u32 s8, s8, s10
	v_readfirstlane_b32 s10, v6
	s_mul_i32 s9, s4, s8
	s_mul_hi_u32 s11, s4, s10
	s_add_i32 s9, s11, s9
	s_mul_i32 s5, s5, s10
	s_add_i32 s9, s9, s5
	s_mul_i32 s4, s4, s10
	s_mul_hi_u32 s11, s8, s4
	s_mul_i32 s12, s8, s4
	s_mul_i32 s14, s10, s9
	s_mul_hi_u32 s4, s10, s4
	s_mul_hi_u32 s13, s10, s9
	s_add_u32 s4, s4, s14
	s_addc_u32 s10, 0, s13
	s_add_u32 s4, s4, s12
	s_mul_hi_u32 s5, s8, s9
	s_addc_u32 s4, s10, s11
	s_addc_u32 s5, s5, 0
	s_mul_i32 s9, s8, s9
	s_add_u32 s4, s4, s9
	s_addc_u32 s5, 0, s5
	v_add_co_u32_e32 v6, vcc, s4, v6
	s_cmp_lg_u64 vcc, 0
	s_addc_u32 s4, s8, s5
	v_readfirstlane_b32 s9, v6
	s_mul_i32 s8, s52, s4
	s_mul_hi_u32 s10, s52, s9
	s_mul_hi_u32 s5, s52, s4
	s_add_u32 s8, s10, s8
	s_addc_u32 s5, 0, s5
	s_mul_hi_u32 s11, s53, s9
	s_mul_i32 s9, s53, s9
	s_add_u32 s8, s8, s9
	s_mul_hi_u32 s10, s53, s4
	s_addc_u32 s5, s5, s11
	s_addc_u32 s8, s10, 0
	s_mul_i32 s4, s53, s4
	s_add_u32 s9, s5, s4
	s_addc_u32 s8, 0, s8
	s_mul_i32 s4, s50, s8
	s_mul_hi_u32 s5, s50, s9
	s_add_i32 s4, s5, s4
	s_mul_i32 s5, s51, s9
	s_add_i32 s10, s4, s5
	s_mul_i32 s5, s50, s9
	v_mov_b32_e32 v6, s5
	s_sub_i32 s4, s53, s10
	v_sub_co_u32_e32 v6, vcc, s52, v6
	s_cmp_lg_u64 vcc, 0
	s_subb_u32 s11, s4, s51
	v_subrev_co_u32_e64 v7, s[4:5], s50, v6
	s_cmp_lg_u64 s[4:5], 0
	s_subb_u32 s11, s11, 0
	s_cmp_ge_u32 s11, s51
	s_cselect_b32 s12, -1, 0
	v_cmp_le_u32_e64 s[4:5], s50, v7
	s_cmp_eq_u32 s11, s51
	v_cndmask_b32_e64 v7, 0, -1, s[4:5]
	v_mov_b32_e32 v8, s12
	s_cselect_b64 s[4:5], -1, 0
	v_cndmask_b32_e64 v7, v8, v7, s[4:5]
	s_add_u32 s4, s9, 1
	s_addc_u32 s11, s8, 0
	s_add_u32 s5, s9, 2
	s_addc_u32 s12, s8, 0
	v_mov_b32_e32 v8, s4
	v_mov_b32_e32 v9, s5
	v_cmp_ne_u32_e64 s[4:5], 0, v7
	v_cndmask_b32_e64 v8, v8, v9, s[4:5]
	v_mov_b32_e32 v7, s11
	v_mov_b32_e32 v9, s12
	s_cmp_lg_u64 vcc, 0
	v_cndmask_b32_e64 v7, v7, v9, s[4:5]
	s_subb_u32 s4, s53, s10
	s_cmp_ge_u32 s4, s51
	s_cselect_b32 s5, -1, 0
	v_cmp_le_u32_e32 vcc, s50, v6
	s_cmp_eq_u32 s4, s51
	v_cndmask_b32_e64 v6, 0, -1, vcc
	v_mov_b32_e32 v9, s5
	s_cselect_b64 vcc, -1, 0
	v_cndmask_b32_e32 v6, v9, v6, vcc
	v_mov_b32_e32 v9, s8
	v_cmp_ne_u32_e32 vcc, 0, v6
	v_mov_b32_e32 v6, s9
	v_cndmask_b32_e32 v7, v9, v7, vcc
	v_cndmask_b32_e32 v6, v6, v8, vcc
	s_cbranch_execnz .LBB17_226
.LBB17_225:
	v_cvt_f32_u32_e32 v6, s50
	s_sub_i32 s4, 0, s50
	s_mov_b32 s5, 0
	v_rcp_iflag_f32_e32 v6, v6
	v_mul_f32_e32 v6, 0x4f7ffffe, v6
	v_cvt_u32_f32_e32 v6, v6
	v_readfirstlane_b32 s6, v6
	s_mul_i32 s4, s4, s6
	s_mul_hi_u32 s4, s6, s4
	s_add_i32 s6, s6, s4
	s_mul_hi_u32 s4, s52, s6
	s_mul_i32 s7, s4, s50
	s_sub_i32 s7, s52, s7
	s_add_i32 s6, s4, 1
	s_sub_i32 s8, s7, s50
	s_cmp_ge_u32 s7, s50
	s_cselect_b32 s4, s6, s4
	s_cselect_b32 s7, s8, s7
	s_add_i32 s6, s4, 1
	s_cmp_ge_u32 s7, s50
	s_cselect_b32 s4, s6, s4
	v_pk_mov_b32 v[6:7], s[4:5], s[4:5] op_sel:[0,1]
.LBB17_226:
	s_movk_i32 s4, 0xff98
	v_mad_i32_i24 v1, v0, s4, v1
	s_waitcnt lgkmcnt(0)
	ds_write_b64 v1, v[24:25] offset:28672
	s_waitcnt lgkmcnt(0)
	s_barrier
	s_and_saveexec_b64 s[4:5], s[36:37]
	s_cbranch_execz .LBB17_228
; %bb.227:
	ds_read_b64 v[6:7], v1 offset:28664
.LBB17_228:
	s_or_b64 exec, exec, s[4:5]
	v_lshlrev_b32_e32 v8, 2, v0
	v_mov_b32_e32 v9, s67
	v_add_co_u32_e32 v8, vcc, s66, v8
	v_addc_co_u32_e32 v9, vcc, 0, v9, vcc
	s_movk_i32 s4, 0x1000
	v_add_co_u32_e32 v34, vcc, s4, v8
	v_addc_co_u32_e32 v35, vcc, 0, v9, vcc
	s_movk_i32 s4, 0x2000
	s_waitcnt lgkmcnt(0)
	s_barrier
	flat_load_dword v36, v[8:9]
	flat_load_dword v37, v[8:9] offset:1024
	flat_load_dword v38, v[8:9] offset:2048
	;; [unrolled: 1-line block ×3, first 2 shown]
	flat_load_dword v40, v[34:35]
	flat_load_dword v41, v[34:35] offset:1024
	flat_load_dword v42, v[34:35] offset:2048
	;; [unrolled: 1-line block ×3, first 2 shown]
	v_add_co_u32_e32 v34, vcc, s4, v8
	v_addc_co_u32_e32 v35, vcc, 0, v9, vcc
	s_movk_i32 s4, 0x3000
	v_add_co_u32_e32 v8, vcc, s4, v8
	v_addc_co_u32_e32 v9, vcc, 0, v9, vcc
	flat_load_dword v44, v[34:35]
	flat_load_dword v45, v[34:35] offset:1024
	flat_load_dword v46, v[34:35] offset:2048
	;; [unrolled: 1-line block ×3, first 2 shown]
	flat_load_dword v48, v[8:9]
	flat_load_dword v49, v[8:9] offset:1024
	v_cmp_ne_u64_e32 vcc, v[6:7], v[14:15]
	v_cndmask_b32_e64 v57, 0, 1, vcc
	v_cmp_ne_u64_e32 vcc, v[4:5], v[30:31]
	v_cndmask_b32_e64 v9, 0, 1, vcc
	v_cmp_ne_u64_e32 vcc, v[2:3], v[4:5]
	v_cndmask_b32_e64 v7, 0, 1, vcc
	v_cmp_ne_u64_e32 vcc, v[16:17], v[2:3]
	v_cndmask_b32_e64 v5, 0, 1, vcc
	v_cmp_ne_u64_e32 vcc, v[14:15], v[16:17]
	v_lshlrev_b32_e32 v8, 2, v0
	v_cndmask_b32_e64 v3, 0, 1, vcc
	v_cmp_ne_u64_e32 vcc, v[12:13], v[26:27]
	v_cndmask_b32_e64 v17, 0, 1, vcc
	v_cmp_ne_u64_e32 vcc, v[10:11], v[12:13]
	v_sub_u32_e32 v1, v1, v8
	v_cmp_ne_u64_e64 s[16:17], v[22:23], v[24:25]
	v_cndmask_b32_e64 v15, 0, 1, vcc
	v_cmp_ne_u64_e32 vcc, v[32:33], v[10:11]
	v_mad_u32_u24 v24, v0, 52, v1
	v_cndmask_b32_e64 v13, 0, 1, vcc
	v_cmp_ne_u64_e32 vcc, v[30:31], v[32:33]
	v_cndmask_b32_e64 v11, 0, 1, vcc
	v_cmp_ne_u64_e32 vcc, v[20:21], v[22:23]
	;; [unrolled: 2-line block ×5, first 2 shown]
	v_cndmask_b32_e64 v19, 0, 1, vcc
	s_mov_b64 s[18:19], -1
                                        ; implicit-def: $sgpr12_sgpr13
	s_waitcnt vmcnt(0) lgkmcnt(0)
	ds_write2st64_b32 v1, v36, v37 offset1:4
	ds_write2st64_b32 v1, v38, v39 offset0:8 offset1:12
	ds_write2st64_b32 v1, v40, v41 offset0:16 offset1:20
	;; [unrolled: 1-line block ×6, first 2 shown]
	s_waitcnt lgkmcnt(0)
	s_barrier
	ds_read2_b32 v[58:59], v24 offset1:13
	ds_read2_b32 v[30:31], v24 offset0:7 offset1:8
	ds_read2_b32 v[32:33], v24 offset0:5 offset1:6
	;; [unrolled: 1-line block ×4, first 2 shown]
	s_waitcnt lgkmcnt(4)
	v_mov_b32_e32 v56, v58
	s_waitcnt lgkmcnt(3)
	v_mov_b32_e32 v14, v30
	;; [unrolled: 2-line block ×3, first 2 shown]
	v_mov_b32_e32 v12, v33
	v_mov_b32_e32 v16, v31
	ds_read2_b32 v[30:31], v24 offset0:11 offset1:12
	ds_read2_b32 v[32:33], v24 offset0:9 offset1:10
	s_waitcnt lgkmcnt(2)
	v_mov_b32_e32 v2, v36
	v_mov_b32_e32 v4, v37
	v_mov_b32_e32 v6, v34
	v_mov_b32_e32 v8, v35
	s_waitcnt lgkmcnt(0)
	v_mov_b32_e32 v18, v32
	v_mov_b32_e32 v20, v33
	;; [unrolled: 1-line block ×4, first 2 shown]
.LBB17_229:
	v_pk_mov_b32 v[38:39], s[12:13], s[12:13] op_sel:[0,1]
	s_and_saveexec_b64 s[4:5], s[18:19]
	s_cbranch_execz .LBB17_231
; %bb.230:
	v_cndmask_b32_e64 v39, 0, 1, s[16:17]
	s_waitcnt lgkmcnt(0)
	v_mov_b32_e32 v38, v59
.LBB17_231:
	s_or_b64 exec, exec, s[4:5]
	s_mov_b32 s4, 0
	s_cmp_lg_u32 s59, 0
	v_mbcnt_lo_u32_b32 v49, -1, 0
	v_lshrrev_b32_e32 v1, 6, v0
	v_or_b32_e32 v48, 63, v0
	s_waitcnt lgkmcnt(0)
	s_barrier
	s_cbranch_scc0 .LBB17_264
; %bb.232:
	s_mov_b32 s5, 1
	v_cmp_gt_u64_e64 s[6:7], s[4:5], v[2:3]
	v_cndmask_b32_e64 v27, 0, v56, s[6:7]
	v_add_u32_e32 v27, v27, v2
	v_cmp_gt_u64_e64 s[8:9], s[4:5], v[4:5]
	v_cndmask_b32_e64 v27, 0, v27, s[8:9]
	v_add_u32_e32 v27, v27, v4
	;; [unrolled: 3-line block ×13, first 2 shown]
	v_or3_b32 v27, v39, v25, v23
	v_or3_b32 v27, v27, v21, v19
	;; [unrolled: 1-line block ×6, first 2 shown]
	v_mov_b32_e32 v26, 0
	v_and_b32_e32 v27, 1, v27
	v_cmp_eq_u64_e32 vcc, 0, v[26:27]
	v_cndmask_b32_e32 v26, 1, v57, vcc
	v_mbcnt_hi_u32_b32 v44, -1, v49
	v_mov_b32_dpp v29, v28 row_shr:1 row_mask:0xf bank_mask:0xf
	v_mov_b32_dpp v30, v26 row_shr:1 row_mask:0xf bank_mask:0xf
	v_cmp_eq_u32_e32 vcc, 0, v26
	v_and_b32_e32 v31, 1, v26
	v_and_b32_e32 v27, 15, v44
	v_cndmask_b32_e32 v29, 0, v29, vcc
	v_and_b32_e32 v30, 1, v30
	v_cmp_eq_u32_e32 vcc, 1, v31
	v_cndmask_b32_e64 v30, v30, 1, vcc
	v_cmp_eq_u32_e32 vcc, 0, v27
	v_cndmask_b32_e32 v26, v30, v26, vcc
	v_and_b32_e32 v31, 1, v26
	v_cmp_eq_u32_e64 s[4:5], 1, v31
	v_mov_b32_dpp v30, v26 row_shr:2 row_mask:0xf bank_mask:0xf
	v_and_b32_e32 v30, 1, v30
	v_cndmask_b32_e64 v30, v30, 1, s[4:5]
	v_cmp_lt_u32_e64 s[4:5], 1, v27
	v_cndmask_b32_e64 v29, v29, 0, vcc
	v_cmp_eq_u32_e32 vcc, 0, v26
	v_cndmask_b32_e64 v26, v26, v30, s[4:5]
	v_add_u32_e32 v28, v29, v28
	v_and_b32_e32 v31, 1, v26
	v_mov_b32_dpp v30, v26 row_shr:4 row_mask:0xf bank_mask:0xf
	v_mov_b32_dpp v29, v28 row_shr:2 row_mask:0xf bank_mask:0xf
	s_and_b64 vcc, s[4:5], vcc
	v_and_b32_e32 v30, 1, v30
	v_cmp_eq_u32_e64 s[4:5], 1, v31
	v_cndmask_b32_e32 v29, 0, v29, vcc
	v_cndmask_b32_e64 v30, v30, 1, s[4:5]
	v_cmp_lt_u32_e64 s[4:5], 3, v27
	v_add_u32_e32 v28, v29, v28
	v_cmp_eq_u32_e32 vcc, 0, v26
	v_cndmask_b32_e64 v26, v26, v30, s[4:5]
	v_mov_b32_dpp v29, v28 row_shr:4 row_mask:0xf bank_mask:0xf
	s_and_b64 vcc, s[4:5], vcc
	v_mov_b32_dpp v30, v26 row_shr:8 row_mask:0xf bank_mask:0xf
	v_and_b32_e32 v31, 1, v26
	v_cndmask_b32_e32 v29, 0, v29, vcc
	v_and_b32_e32 v30, 1, v30
	v_cmp_eq_u32_e64 s[4:5], 1, v31
	v_add_u32_e32 v28, v29, v28
	v_cmp_eq_u32_e32 vcc, 0, v26
	v_cndmask_b32_e64 v30, v30, 1, s[4:5]
	v_cmp_lt_u32_e64 s[4:5], 7, v27
	v_mov_b32_dpp v29, v28 row_shr:8 row_mask:0xf bank_mask:0xf
	s_and_b64 vcc, s[4:5], vcc
	v_cndmask_b32_e32 v27, 0, v29, vcc
	v_cndmask_b32_e64 v26, v26, v30, s[4:5]
	v_add_u32_e32 v27, v27, v28
	v_cmp_eq_u32_e32 vcc, 0, v26
	v_mov_b32_dpp v29, v26 row_bcast:15 row_mask:0xf bank_mask:0xf
	v_mov_b32_dpp v28, v27 row_bcast:15 row_mask:0xf bank_mask:0xf
	v_and_b32_e32 v32, 1, v26
	v_and_b32_e32 v31, 16, v44
	v_cndmask_b32_e32 v28, 0, v28, vcc
	v_and_b32_e32 v29, 1, v29
	v_cmp_eq_u32_e32 vcc, 1, v32
	v_bfe_i32 v30, v44, 4, 1
	v_cndmask_b32_e64 v29, v29, 1, vcc
	v_cmp_eq_u32_e32 vcc, 0, v31
	v_and_b32_e32 v28, v30, v28
	v_cndmask_b32_e32 v26, v29, v26, vcc
	v_add_u32_e32 v27, v28, v27
	v_and_b32_e32 v30, 1, v26
	v_mov_b32_dpp v28, v26 row_bcast:31 row_mask:0xf bank_mask:0xf
	v_and_b32_e32 v28, 1, v28
	v_cmp_eq_u32_e64 s[4:5], 1, v30
	v_cmp_eq_u32_e32 vcc, 0, v26
	v_cndmask_b32_e64 v28, v28, 1, s[4:5]
	v_cmp_lt_u32_e64 s[4:5], 31, v44
	v_mov_b32_dpp v29, v27 row_bcast:31 row_mask:0xf bank_mask:0xf
	s_and_b64 vcc, s[4:5], vcc
	v_cndmask_b32_e64 v28, v26, v28, s[4:5]
	v_cndmask_b32_e32 v26, 0, v29, vcc
	v_add_u32_e32 v29, v26, v27
	v_cmp_eq_u32_e32 vcc, v48, v0
	s_and_saveexec_b64 s[4:5], vcc
	s_cbranch_execz .LBB17_234
; %bb.233:
	v_lshlrev_b32_e32 v26, 3, v1
	ds_write_b32 v26, v29
	ds_write_b8 v26, v28 offset:4
.LBB17_234:
	s_or_b64 exec, exec, s[4:5]
	v_cmp_gt_u32_e32 vcc, 4, v0
	s_waitcnt lgkmcnt(0)
	s_barrier
	s_and_saveexec_b64 s[4:5], vcc
	s_cbranch_execz .LBB17_238
; %bb.235:
	v_lshlrev_b32_e32 v30, 3, v0
	ds_read_b64 v[26:27], v30
	v_and_b32_e32 v31, 3, v44
	v_cmp_ne_u32_e32 vcc, 0, v31
	s_waitcnt lgkmcnt(0)
	v_mov_b32_dpp v32, v26 row_shr:1 row_mask:0xf bank_mask:0xf
	v_mov_b32_dpp v34, v27 row_shr:1 row_mask:0xf bank_mask:0xf
	v_mov_b32_e32 v33, v27
	s_and_saveexec_b64 s[34:35], vcc
	s_cbranch_execz .LBB17_237
; %bb.236:
	v_and_b32_e32 v33, 1, v27
	v_and_b32_e32 v34, 1, v34
	v_cmp_eq_u32_e32 vcc, 1, v33
	v_mov_b32_e32 v33, 0
	v_cndmask_b32_e64 v34, v34, 1, vcc
	v_cmp_eq_u16_sdwa vcc, v27, v33 src0_sel:BYTE_0 src1_sel:DWORD
	v_cndmask_b32_e32 v32, 0, v32, vcc
	v_add_u32_e32 v26, v32, v26
	v_and_b32_e32 v32, 0xffff, v34
	s_movk_i32 s40, 0xff00
	v_and_or_b32 v33, v27, s40, v32
	v_mov_b32_e32 v27, v34
.LBB17_237:
	s_or_b64 exec, exec, s[34:35]
	v_mov_b32_dpp v33, v33 row_shr:2 row_mask:0xf bank_mask:0xf
	v_and_b32_e32 v34, 1, v27
	v_and_b32_e32 v33, 1, v33
	v_cmp_eq_u32_e32 vcc, 1, v34
	v_mov_b32_e32 v34, 0
	v_cndmask_b32_e64 v33, v33, 1, vcc
	v_cmp_eq_u16_sdwa s[34:35], v27, v34 src0_sel:BYTE_0 src1_sel:DWORD
	v_cmp_lt_u32_e32 vcc, 1, v31
	v_mov_b32_dpp v32, v26 row_shr:2 row_mask:0xf bank_mask:0xf
	v_cndmask_b32_e32 v27, v27, v33, vcc
	s_and_b64 vcc, vcc, s[34:35]
	v_cndmask_b32_e32 v31, 0, v32, vcc
	v_add_u32_e32 v26, v31, v26
	ds_write_b32 v30, v26
	ds_write_b8 v30, v27 offset:4
.LBB17_238:
	s_or_b64 exec, exec, s[4:5]
	v_cmp_gt_u32_e32 vcc, 64, v0
	v_cmp_lt_u32_e64 s[4:5], 63, v0
	v_mov_b32_e32 v40, 0
	v_mov_b32_e32 v41, 0
	s_waitcnt lgkmcnt(0)
	s_barrier
	s_and_saveexec_b64 s[34:35], s[4:5]
	s_cbranch_execz .LBB17_240
; %bb.239:
	v_lshl_add_u32 v26, v1, 3, -8
	ds_read_b32 v40, v26
	ds_read_u8 v41, v26 offset:4
	v_and_b32_e32 v27, 1, v28
	v_cmp_eq_u32_e64 s[4:5], 0, v28
	s_waitcnt lgkmcnt(1)
	v_cndmask_b32_e64 v26, 0, v40, s[4:5]
	v_cmp_eq_u32_e64 s[4:5], 1, v27
	v_add_u32_e32 v29, v26, v29
	s_waitcnt lgkmcnt(0)
	v_cndmask_b32_e64 v28, v41, 1, s[4:5]
.LBB17_240:
	s_or_b64 exec, exec, s[34:35]
	v_add_u32_e32 v26, -1, v44
	v_and_b32_e32 v27, 64, v44
	v_cmp_lt_i32_e64 s[4:5], v26, v27
	v_cndmask_b32_e64 v26, v26, v44, s[4:5]
	v_lshlrev_b32_e32 v26, 2, v26
	ds_bpermute_b32 v42, v26, v29
	ds_bpermute_b32 v43, v26, v28
	v_cmp_eq_u32_e64 s[34:35], 0, v44
	s_and_saveexec_b64 s[40:41], vcc
	s_cbranch_execz .LBB17_263
; %bb.241:
	v_mov_b32_e32 v29, 0
	ds_read_b64 v[26:27], v29 offset:24
	s_waitcnt lgkmcnt(0)
	v_readfirstlane_b32 s52, v27
	s_and_saveexec_b64 s[4:5], s[34:35]
	s_cbranch_execz .LBB17_243
; %bb.242:
	s_add_i32 s46, s59, 64
	s_mov_b32 s47, 0
	s_lshl_b64 s[50:51], s[46:47], 4
	s_add_u32 s50, s56, s50
	s_addc_u32 s51, s57, s51
	s_and_b32 s55, s52, 0xff000000
	s_mov_b32 s54, s47
	s_and_b32 s63, s52, 0xff0000
	s_mov_b32 s62, s47
	s_or_b64 s[54:55], s[62:63], s[54:55]
	s_and_b32 s63, s52, 0xff00
	s_or_b64 s[54:55], s[54:55], s[62:63]
	s_and_b32 s63, s52, 0xff
	s_or_b64 s[46:47], s[54:55], s[62:63]
	v_mov_b32_e32 v27, s47
	v_mov_b32_e32 v28, 1
	v_pk_mov_b32 v[30:31], s[50:51], s[50:51] op_sel:[0,1]
	;;#ASMSTART
	global_store_dwordx4 v[30:31], v[26:29] off	
s_waitcnt vmcnt(0)
	;;#ASMEND
.LBB17_243:
	s_or_b64 exec, exec, s[4:5]
	v_xad_u32 v34, v44, -1, s59
	v_add_u32_e32 v28, 64, v34
	v_lshlrev_b64 v[30:31], 4, v[28:29]
	v_mov_b32_e32 v27, s57
	v_add_co_u32_e32 v36, vcc, s56, v30
	v_addc_co_u32_e32 v37, vcc, v27, v31, vcc
	;;#ASMSTART
	global_load_dwordx4 v[30:33], v[36:37] off glc	
s_waitcnt vmcnt(0)
	;;#ASMEND
	v_and_b32_e32 v27, 0xff0000, v30
	v_or_b32_sdwa v27, v30, v27 dst_sel:DWORD dst_unused:UNUSED_PAD src0_sel:WORD_0 src1_sel:DWORD
	v_and_b32_e32 v28, 0xff000000, v30
	v_and_b32_e32 v30, 0xff, v31
	v_or3_b32 v31, 0, 0, v30
	v_or3_b32 v30, v27, v28, 0
	v_cmp_eq_u16_sdwa s[46:47], v32, v29 src0_sel:BYTE_0 src1_sel:DWORD
	s_and_saveexec_b64 s[4:5], s[46:47]
	s_cbranch_execz .LBB17_249
; %bb.244:
	s_mov_b32 s50, 1
	s_mov_b64 s[46:47], 0
	v_mov_b32_e32 v27, 0
.LBB17_245:                             ; =>This Loop Header: Depth=1
                                        ;     Child Loop BB17_246 Depth 2
	s_max_u32 s51, s50, 1
.LBB17_246:                             ;   Parent Loop BB17_245 Depth=1
                                        ; =>  This Inner Loop Header: Depth=2
	s_add_i32 s51, s51, -1
	s_cmp_eq_u32 s51, 0
	s_sleep 1
	s_cbranch_scc0 .LBB17_246
; %bb.247:                              ;   in Loop: Header=BB17_245 Depth=1
	s_cmp_lt_u32 s50, 32
	s_cselect_b64 s[54:55], -1, 0
	s_cmp_lg_u64 s[54:55], 0
	s_addc_u32 s50, s50, 0
	;;#ASMSTART
	global_load_dwordx4 v[30:33], v[36:37] off glc	
s_waitcnt vmcnt(0)
	;;#ASMEND
	v_cmp_ne_u16_sdwa s[54:55], v32, v27 src0_sel:BYTE_0 src1_sel:DWORD
	s_or_b64 s[46:47], s[54:55], s[46:47]
	s_andn2_b64 exec, exec, s[46:47]
	s_cbranch_execnz .LBB17_245
; %bb.248:
	s_or_b64 exec, exec, s[46:47]
	v_and_b32_e32 v31, 0xff, v31
.LBB17_249:
	s_or_b64 exec, exec, s[4:5]
	v_mov_b32_e32 v27, 2
	v_cmp_eq_u16_sdwa s[4:5], v32, v27 src0_sel:BYTE_0 src1_sel:DWORD
	v_lshlrev_b64 v[28:29], v44, -1
	v_and_b32_e32 v33, s5, v29
	v_or_b32_e32 v33, 0x80000000, v33
	v_and_b32_e32 v35, s4, v28
	v_ffbl_b32_e32 v33, v33
	v_and_b32_e32 v45, 63, v44
	v_add_u32_e32 v33, 32, v33
	v_ffbl_b32_e32 v35, v35
	v_cmp_ne_u32_e32 vcc, 63, v45
	v_min_u32_e32 v33, v35, v33
	v_addc_co_u32_e32 v35, vcc, 0, v44, vcc
	v_lshlrev_b32_e32 v46, 2, v35
	ds_bpermute_b32 v35, v46, v31
	ds_bpermute_b32 v36, v46, v30
	s_mov_b32 s46, 0
	v_and_b32_e32 v37, 1, v31
	s_mov_b32 s47, 1
	s_waitcnt lgkmcnt(1)
	v_and_b32_e32 v35, 1, v35
	v_cmp_eq_u32_e32 vcc, 1, v37
	v_cndmask_b32_e64 v35, v35, 1, vcc
	v_cmp_gt_u64_e32 vcc, s[46:47], v[30:31]
	v_cmp_lt_u32_e64 s[4:5], v45, v33
	s_and_b64 vcc, s[4:5], vcc
	v_and_b32_e32 v37, 0xffff, v35
	v_cndmask_b32_e64 v51, v31, v35, s[4:5]
	s_waitcnt lgkmcnt(0)
	v_cndmask_b32_e32 v35, 0, v36, vcc
	v_cmp_gt_u32_e32 vcc, 62, v45
	v_cndmask_b32_e64 v36, 0, 1, vcc
	v_lshlrev_b32_e32 v36, 1, v36
	v_cndmask_b32_e64 v31, v31, v37, s[4:5]
	v_add_lshl_u32 v47, v36, v44, 2
	ds_bpermute_b32 v36, v47, v31
	v_add_u32_e32 v30, v35, v30
	ds_bpermute_b32 v37, v47, v30
	v_and_b32_e32 v35, 1, v51
	v_cmp_eq_u32_e32 vcc, 1, v35
	s_waitcnt lgkmcnt(1)
	v_and_b32_e32 v36, 1, v36
	v_mov_b32_e32 v35, 0
	v_add_u32_e32 v50, 2, v45
	v_cndmask_b32_e64 v36, v36, 1, vcc
	v_cmp_eq_u16_sdwa vcc, v51, v35 src0_sel:BYTE_0 src1_sel:DWORD
	v_and_b32_e32 v52, 0xffff, v36
	s_waitcnt lgkmcnt(0)
	v_cndmask_b32_e32 v37, 0, v37, vcc
	v_cmp_gt_u32_e32 vcc, v50, v33
	v_cndmask_b32_e32 v36, v36, v51, vcc
	v_cndmask_b32_e64 v37, v37, 0, vcc
	v_cndmask_b32_e32 v31, v52, v31, vcc
	v_cmp_gt_u32_e32 vcc, 60, v45
	v_cndmask_b32_e64 v51, 0, 1, vcc
	v_lshlrev_b32_e32 v51, 2, v51
	v_add_lshl_u32 v51, v51, v44, 2
	ds_bpermute_b32 v53, v51, v31
	v_add_u32_e32 v30, v37, v30
	ds_bpermute_b32 v37, v51, v30
	v_and_b32_e32 v54, 1, v36
	v_cmp_eq_u32_e32 vcc, 1, v54
	s_waitcnt lgkmcnt(1)
	v_and_b32_e32 v53, 1, v53
	v_add_u32_e32 v52, 4, v45
	v_cndmask_b32_e64 v53, v53, 1, vcc
	v_cmp_eq_u16_sdwa vcc, v36, v35 src0_sel:BYTE_0 src1_sel:DWORD
	v_and_b32_e32 v54, 0xffff, v53
	s_waitcnt lgkmcnt(0)
	v_cndmask_b32_e32 v37, 0, v37, vcc
	v_cmp_gt_u32_e32 vcc, v52, v33
	v_cndmask_b32_e32 v36, v53, v36, vcc
	v_cndmask_b32_e64 v37, v37, 0, vcc
	v_cndmask_b32_e32 v31, v54, v31, vcc
	v_cmp_gt_u32_e32 vcc, 56, v45
	v_cndmask_b32_e64 v53, 0, 1, vcc
	v_lshlrev_b32_e32 v53, 3, v53
	v_add_lshl_u32 v53, v53, v44, 2
	ds_bpermute_b32 v55, v53, v31
	v_add_u32_e32 v30, v37, v30
	ds_bpermute_b32 v37, v53, v30
	v_and_b32_e32 v58, 1, v36
	v_cmp_eq_u32_e32 vcc, 1, v58
	s_waitcnt lgkmcnt(1)
	v_and_b32_e32 v55, 1, v55
	;; [unrolled: 21-line block ×4, first 2 shown]
	v_add_u32_e32 v61, 32, v45
	v_cndmask_b32_e64 v31, v31, 1, vcc
	v_cmp_eq_u16_sdwa vcc, v36, v35 src0_sel:BYTE_0 src1_sel:DWORD
	s_waitcnt lgkmcnt(0)
	v_cndmask_b32_e32 v37, 0, v37, vcc
	v_cmp_gt_u32_e32 vcc, v61, v33
	v_cndmask_b32_e64 v33, v37, 0, vcc
	v_cndmask_b32_e32 v31, v31, v36, vcc
	v_add_u32_e32 v30, v33, v30
	s_branch .LBB17_251
.LBB17_250:                             ;   in Loop: Header=BB17_251 Depth=1
	s_or_b64 exec, exec, s[4:5]
	v_cmp_eq_u16_sdwa s[4:5], v32, v27 src0_sel:BYTE_0 src1_sel:DWORD
	v_and_b32_e32 v33, s5, v29
	ds_bpermute_b32 v37, v46, v31
	v_or_b32_e32 v33, 0x80000000, v33
	v_and_b32_e32 v36, s4, v28
	v_ffbl_b32_e32 v33, v33
	v_add_u32_e32 v33, 32, v33
	v_ffbl_b32_e32 v36, v36
	v_min_u32_e32 v33, v36, v33
	ds_bpermute_b32 v36, v46, v30
	v_and_b32_e32 v62, 1, v31
	s_waitcnt lgkmcnt(1)
	v_and_b32_e32 v37, 1, v37
	v_cmp_eq_u32_e32 vcc, 1, v62
	v_cndmask_b32_e64 v37, v37, 1, vcc
	v_cmp_gt_u64_e32 vcc, s[46:47], v[30:31]
	v_and_b32_e32 v62, 0xffff, v37
	v_cmp_lt_u32_e64 s[4:5], v45, v33
	v_cndmask_b32_e64 v37, v31, v37, s[4:5]
	v_cndmask_b32_e64 v31, v31, v62, s[4:5]
	s_and_b64 vcc, s[4:5], vcc
	ds_bpermute_b32 v62, v47, v31
	s_waitcnt lgkmcnt(1)
	v_cndmask_b32_e32 v36, 0, v36, vcc
	v_add_u32_e32 v30, v36, v30
	ds_bpermute_b32 v36, v47, v30
	v_and_b32_e32 v63, 1, v37
	s_waitcnt lgkmcnt(1)
	v_and_b32_e32 v62, 1, v62
	v_cmp_eq_u32_e32 vcc, 1, v63
	v_cndmask_b32_e64 v62, v62, 1, vcc
	v_cmp_eq_u16_sdwa vcc, v37, v35 src0_sel:BYTE_0 src1_sel:DWORD
	v_and_b32_e32 v63, 0xffff, v62
	s_waitcnt lgkmcnt(0)
	v_cndmask_b32_e32 v36, 0, v36, vcc
	v_cmp_gt_u32_e32 vcc, v50, v33
	v_cndmask_b32_e32 v31, v63, v31, vcc
	v_cndmask_b32_e32 v37, v62, v37, vcc
	ds_bpermute_b32 v62, v51, v31
	v_cndmask_b32_e64 v36, v36, 0, vcc
	v_add_u32_e32 v30, v36, v30
	ds_bpermute_b32 v36, v51, v30
	v_and_b32_e32 v63, 1, v37
	s_waitcnt lgkmcnt(1)
	v_and_b32_e32 v62, 1, v62
	v_cmp_eq_u32_e32 vcc, 1, v63
	v_cndmask_b32_e64 v62, v62, 1, vcc
	v_cmp_eq_u16_sdwa vcc, v37, v35 src0_sel:BYTE_0 src1_sel:DWORD
	v_and_b32_e32 v63, 0xffff, v62
	s_waitcnt lgkmcnt(0)
	v_cndmask_b32_e32 v36, 0, v36, vcc
	v_cmp_gt_u32_e32 vcc, v52, v33
	v_cndmask_b32_e32 v31, v63, v31, vcc
	v_cndmask_b32_e32 v37, v62, v37, vcc
	ds_bpermute_b32 v62, v53, v31
	v_cndmask_b32_e64 v36, v36, 0, vcc
	;; [unrolled: 16-line block ×3, first 2 shown]
	v_add_u32_e32 v30, v36, v30
	ds_bpermute_b32 v36, v55, v30
	v_and_b32_e32 v63, 1, v37
	s_waitcnt lgkmcnt(1)
	v_and_b32_e32 v62, 1, v62
	v_cmp_eq_u32_e32 vcc, 1, v63
	v_cndmask_b32_e64 v62, v62, 1, vcc
	v_cmp_eq_u16_sdwa vcc, v37, v35 src0_sel:BYTE_0 src1_sel:DWORD
	v_and_b32_e32 v63, 0xffff, v62
	s_waitcnt lgkmcnt(0)
	v_cndmask_b32_e32 v36, 0, v36, vcc
	v_cmp_gt_u32_e32 vcc, v58, v33
	v_cndmask_b32_e64 v36, v36, 0, vcc
	v_cndmask_b32_e32 v31, v63, v31, vcc
	ds_bpermute_b32 v31, v60, v31
	v_add_u32_e32 v30, v36, v30
	ds_bpermute_b32 v36, v60, v30
	v_cndmask_b32_e32 v37, v62, v37, vcc
	v_and_b32_e32 v62, 1, v37
	v_cmp_eq_u32_e32 vcc, 1, v62
	s_waitcnt lgkmcnt(1)
	v_cndmask_b32_e64 v31, v31, 1, vcc
	v_cmp_eq_u16_sdwa vcc, v37, v35 src0_sel:BYTE_0 src1_sel:DWORD
	s_waitcnt lgkmcnt(0)
	v_cndmask_b32_e32 v36, 0, v36, vcc
	v_cmp_gt_u32_e32 vcc, v61, v33
	v_cndmask_b32_e64 v33, v36, 0, vcc
	v_cndmask_b32_e32 v31, v31, v37, vcc
	v_add_u32_e32 v30, v33, v30
	v_cmp_eq_u16_sdwa vcc, v44, v35 src0_sel:BYTE_0 src1_sel:DWORD
	v_and_b32_e32 v33, 1, v44
	v_cndmask_b32_e32 v30, 0, v30, vcc
	v_and_b32_e32 v31, 1, v31
	v_cmp_eq_u32_e32 vcc, 1, v33
	v_subrev_u32_e32 v34, 64, v34
	v_add_u32_e32 v30, v30, v59
	v_cndmask_b32_e64 v31, v31, 1, vcc
.LBB17_251:                             ; =>This Loop Header: Depth=1
                                        ;     Child Loop BB17_254 Depth 2
                                        ;       Child Loop BB17_255 Depth 3
	v_cmp_ne_u16_sdwa s[4:5], v32, v27 src0_sel:BYTE_0 src1_sel:DWORD
	v_mov_b32_e32 v44, v31
	v_cndmask_b32_e64 v31, 0, 1, s[4:5]
	;;#ASMSTART
	;;#ASMEND
	v_cmp_ne_u32_e32 vcc, 0, v31
	s_cmp_lg_u64 vcc, exec
	v_mov_b32_e32 v59, v30
	s_cbranch_scc1 .LBB17_258
; %bb.252:                              ;   in Loop: Header=BB17_251 Depth=1
	v_lshlrev_b64 v[30:31], 4, v[34:35]
	v_mov_b32_e32 v32, s57
	v_add_co_u32_e32 v36, vcc, s56, v30
	v_addc_co_u32_e32 v37, vcc, v32, v31, vcc
	;;#ASMSTART
	global_load_dwordx4 v[30:33], v[36:37] off glc	
s_waitcnt vmcnt(0)
	;;#ASMEND
	v_and_b32_e32 v33, 0xff0000, v30
	v_or_b32_sdwa v33, v30, v33 dst_sel:DWORD dst_unused:UNUSED_PAD src0_sel:WORD_0 src1_sel:DWORD
	v_and_b32_e32 v30, 0xff000000, v30
	v_and_b32_e32 v31, 0xff, v31
	v_or3_b32 v31, 0, 0, v31
	v_or3_b32 v30, v33, v30, 0
	v_cmp_eq_u16_sdwa s[50:51], v32, v35 src0_sel:BYTE_0 src1_sel:DWORD
	s_and_saveexec_b64 s[4:5], s[50:51]
	s_cbranch_execz .LBB17_250
; %bb.253:                              ;   in Loop: Header=BB17_251 Depth=1
	s_mov_b32 s53, 1
	s_mov_b64 s[50:51], 0
.LBB17_254:                             ;   Parent Loop BB17_251 Depth=1
                                        ; =>  This Loop Header: Depth=2
                                        ;       Child Loop BB17_255 Depth 3
	s_max_u32 s54, s53, 1
.LBB17_255:                             ;   Parent Loop BB17_251 Depth=1
                                        ;     Parent Loop BB17_254 Depth=2
                                        ; =>    This Inner Loop Header: Depth=3
	s_add_i32 s54, s54, -1
	s_cmp_eq_u32 s54, 0
	s_sleep 1
	s_cbranch_scc0 .LBB17_255
; %bb.256:                              ;   in Loop: Header=BB17_254 Depth=2
	s_cmp_lt_u32 s53, 32
	s_cselect_b64 s[54:55], -1, 0
	s_cmp_lg_u64 s[54:55], 0
	s_addc_u32 s53, s53, 0
	;;#ASMSTART
	global_load_dwordx4 v[30:33], v[36:37] off glc	
s_waitcnt vmcnt(0)
	;;#ASMEND
	v_cmp_ne_u16_sdwa s[54:55], v32, v35 src0_sel:BYTE_0 src1_sel:DWORD
	s_or_b64 s[50:51], s[54:55], s[50:51]
	s_andn2_b64 exec, exec, s[50:51]
	s_cbranch_execnz .LBB17_254
; %bb.257:                              ;   in Loop: Header=BB17_251 Depth=1
	s_or_b64 exec, exec, s[50:51]
	v_and_b32_e32 v31, 0xff, v31
	s_branch .LBB17_250
.LBB17_258:                             ;   in Loop: Header=BB17_251 Depth=1
                                        ; implicit-def: $vgpr31
                                        ; implicit-def: $vgpr30
                                        ; implicit-def: $vgpr32
	s_cbranch_execz .LBB17_251
; %bb.259:
	s_and_saveexec_b64 s[4:5], s[34:35]
	s_cbranch_execz .LBB17_261
; %bb.260:
	s_and_b32 s46, s52, 0xff
	s_cmp_eq_u32 s46, 0
	s_cselect_b64 vcc, -1, 0
	s_bitcmp1_b32 s52, 0
	s_mov_b32 s47, 0
	s_cselect_b64 s[50:51], -1, 0
	s_add_i32 s46, s59, 64
	s_lshl_b64 s[46:47], s[46:47], 4
	v_cndmask_b32_e32 v27, 0, v59, vcc
	s_add_u32 s46, s56, s46
	v_add_u32_e32 v26, v27, v26
	v_and_b32_e32 v27, 1, v44
	s_addc_u32 s47, s57, s47
	v_mov_b32_e32 v29, 0
	v_cndmask_b32_e64 v27, v27, 1, s[50:51]
	v_mov_b32_e32 v28, 2
	v_pk_mov_b32 v[30:31], s[46:47], s[46:47] op_sel:[0,1]
	;;#ASMSTART
	global_store_dwordx4 v[30:31], v[26:29] off	
s_waitcnt vmcnt(0)
	;;#ASMEND
.LBB17_261:
	s_or_b64 exec, exec, s[4:5]
	s_and_b64 exec, exec, s[0:1]
	s_cbranch_execz .LBB17_263
; %bb.262:
	v_mov_b32_e32 v26, 0
	ds_write_b32 v26, v59 offset:24
	ds_write_b8 v26, v44 offset:28
.LBB17_263:
	s_or_b64 exec, exec, s[40:41]
	s_mov_b32 s4, 0
	v_mov_b32_e32 v28, 0
	s_mov_b32 s5, 1
	s_waitcnt lgkmcnt(0)
	v_cndmask_b32_e64 v26, v43, v41, s[34:35]
	v_cndmask_b32_e64 v27, v42, v40, s[34:35]
	s_barrier
	ds_read_b32 v29, v28 offset:24
	v_cmp_gt_u64_e32 vcc, s[4:5], v[56:57]
	v_and_b32_e32 v30, 1, v57
	v_cndmask_b32_e32 v27, 0, v27, vcc
	v_and_b32_e32 v26, 1, v26
	v_cmp_eq_u32_e32 vcc, 1, v30
	v_cndmask_b32_e64 v26, v26, 1, vcc
	v_cndmask_b32_e64 v26, v26, v57, s[0:1]
	v_cmp_eq_u16_sdwa vcc, v26, v28 src0_sel:BYTE_0 src1_sel:DWORD
	v_cndmask_b32_e64 v27, v27, 0, s[0:1]
	s_waitcnt lgkmcnt(0)
	v_cndmask_b32_e32 v26, 0, v29, vcc
	v_add3_u32 v26, v27, v56, v26
	v_cndmask_b32_e64 v27, 0, v26, s[6:7]
	v_add_u32_e32 v27, v27, v2
	v_cndmask_b32_e64 v28, 0, v27, s[8:9]
	v_add_u32_e32 v40, v28, v4
	;; [unrolled: 2-line block ×13, first 2 shown]
	s_branch .LBB17_280
.LBB17_264:
                                        ; implicit-def: $vgpr47
                                        ; implicit-def: $vgpr45
                                        ; implicit-def: $vgpr43
                                        ; implicit-def: $vgpr41
                                        ; implicit-def: $vgpr34_vgpr35_vgpr36_vgpr37
                                        ; implicit-def: $vgpr30_vgpr31_vgpr32_vgpr33
                                        ; implicit-def: $vgpr26_vgpr27_vgpr28_vgpr29
	s_cbranch_execz .LBB17_280
; %bb.265:
	s_cmp_lg_u64 s[60:61], 0
	s_cselect_b32 s9, s43, 0
	s_cselect_b32 s8, s42, 0
	s_cmp_lg_u64 s[8:9], 0
	s_cselect_b64 s[6:7], -1, 0
	s_mov_b32 s4, 0
	s_and_b64 s[10:11], s[0:1], s[6:7]
	s_and_saveexec_b64 s[6:7], s[10:11]
	s_cbranch_execz .LBB17_267
; %bb.266:
	v_mov_b32_e32 v26, 0
	global_load_dword v28, v26, s[8:9]
	global_load_ubyte v29, v26, s[8:9] offset:4
	s_mov_b32 s5, 1
	v_and_b32_e32 v27, 1, v57
	v_cmp_gt_u64_e32 vcc, s[4:5], v[56:57]
	s_waitcnt vmcnt(1)
	v_cndmask_b32_e32 v28, 0, v28, vcc
	s_waitcnt vmcnt(0)
	v_and_b32_e32 v29, 1, v29
	v_cmp_eq_u64_e32 vcc, 0, v[26:27]
	v_add_u32_e32 v56, v28, v56
	v_cndmask_b32_e32 v57, 1, v29, vcc
.LBB17_267:
	s_or_b64 exec, exec, s[6:7]
	s_mov_b32 s5, 1
	v_cmp_gt_u64_e32 vcc, s[4:5], v[2:3]
	v_cndmask_b32_e32 v26, 0, v56, vcc
	v_add_u32_e32 v27, v26, v2
	v_cmp_gt_u64_e64 s[6:7], s[4:5], v[4:5]
	v_cndmask_b32_e64 v26, 0, v27, s[6:7]
	v_add_u32_e32 v40, v26, v4
	v_cmp_gt_u64_e64 s[8:9], s[4:5], v[6:7]
	v_cndmask_b32_e64 v26, 0, v40, s[8:9]
	;; [unrolled: 3-line block ×6, first 2 shown]
	v_add_u32_e32 v43, v26, v14
	v_cmp_gt_u64_e64 s[18:19], s[4:5], v[16:17]
	v_mov_b32_e32 v28, 0
	v_cndmask_b32_e64 v26, 0, v43, s[18:19]
	v_or3_b32 v7, v23, v15, v7
	v_add_u32_e32 v34, v26, v16
	v_cmp_gt_u64_e64 s[20:21], s[4:5], v[18:19]
	v_or3_b32 v9, v25, v17, v9
	v_and_b32_e32 v51, 1, v7
	v_mov_b32_e32 v50, v28
	v_cndmask_b32_e64 v26, 0, v34, s[20:21]
	v_or3_b32 v3, v19, v11, v3
	v_and_b32_e32 v37, 1, v9
	v_mov_b32_e32 v36, v28
	v_cmp_ne_u64_e64 s[30:31], 0, v[50:51]
	v_add_u32_e32 v35, v26, v18
	v_cmp_gt_u64_e64 s[22:23], s[4:5], v[20:21]
	v_or3_b32 v5, v21, v13, v5
	v_and_b32_e32 v29, 1, v3
	v_cndmask_b32_e64 v3, 0, 1, s[30:31]
	v_cmp_ne_u64_e64 s[30:31], 0, v[36:37]
	v_cndmask_b32_e64 v26, 0, v35, s[22:23]
	v_and_b32_e32 v33, 1, v5
	v_mov_b32_e32 v32, v28
	v_cndmask_b32_e64 v5, 0, 1, s[30:31]
	v_add_u32_e32 v44, v26, v20
	v_cmp_gt_u64_e64 s[24:25], s[4:5], v[22:23]
	v_lshlrev_b16_e32 v3, 2, v3
	v_lshlrev_b16_e32 v5, 3, v5
	v_cmp_ne_u64_e64 s[30:31], 0, v[32:33]
	v_cndmask_b32_e64 v26, 0, v44, s[24:25]
	v_or_b32_e32 v3, v5, v3
	v_cndmask_b32_e64 v5, 0, 1, s[30:31]
	v_cmp_ne_u64_e64 s[30:31], 0, v[28:29]
	v_add_u32_e32 v45, v26, v22
	v_cmp_gt_u64_e64 s[26:27], s[4:5], v[24:25]
	v_lshlrev_b16_e32 v5, 1, v5
	v_cndmask_b32_e64 v7, 0, 1, s[30:31]
	v_cndmask_b32_e64 v26, 0, v45, s[26:27]
	v_or_b32_e32 v5, v7, v5
	v_add_u32_e32 v46, v26, v24
	v_cmp_gt_u64_e64 s[28:29], s[4:5], v[38:39]
	v_and_b32_e32 v5, 3, v5
	v_cndmask_b32_e64 v26, 0, v46, s[28:29]
	v_or_b32_e32 v3, v5, v3
	v_add_u32_e32 v47, v26, v38
	v_and_b32_e32 v26, 1, v39
	v_and_b32_e32 v3, 15, v3
	v_cmp_eq_u32_e64 s[4:5], 1, v26
	v_cmp_ne_u16_e64 s[30:31], 0, v3
	s_or_b64 s[4:5], s[4:5], s[30:31]
	v_cndmask_b32_e64 v5, v57, 1, s[4:5]
	v_mbcnt_hi_u32_b32 v3, -1, v49
	v_mov_b32_dpp v9, v47 row_shr:1 row_mask:0xf bank_mask:0xf
	v_mov_b32_dpp v11, v5 row_shr:1 row_mask:0xf bank_mask:0xf
	v_cmp_eq_u32_e64 s[4:5], 0, v5
	v_and_b32_e32 v13, 1, v5
	v_and_b32_e32 v7, 15, v3
	v_cndmask_b32_e64 v9, 0, v9, s[4:5]
	v_and_b32_e32 v11, 1, v11
	v_cmp_eq_u32_e64 s[4:5], 1, v13
	v_cndmask_b32_e64 v11, v11, 1, s[4:5]
	v_cmp_eq_u32_e64 s[4:5], 0, v7
	v_cndmask_b32_e64 v5, v11, v5, s[4:5]
	v_and_b32_e32 v15, 1, v5
	v_cmp_eq_u32_e64 s[30:31], 1, v15
	v_mov_b32_dpp v13, v5 row_shr:2 row_mask:0xf bank_mask:0xf
	v_and_b32_e32 v13, 1, v13
	v_cndmask_b32_e64 v13, v13, 1, s[30:31]
	v_cmp_lt_u32_e64 s[30:31], 1, v7
	v_cndmask_b32_e64 v9, v9, 0, s[4:5]
	v_cmp_eq_u32_e64 s[4:5], 0, v5
	v_cndmask_b32_e64 v5, v5, v13, s[30:31]
	v_add_u32_e32 v9, v47, v9
	v_and_b32_e32 v15, 1, v5
	v_mov_b32_dpp v13, v5 row_shr:4 row_mask:0xf bank_mask:0xf
	v_mov_b32_dpp v11, v9 row_shr:2 row_mask:0xf bank_mask:0xf
	s_and_b64 s[4:5], s[30:31], s[4:5]
	v_and_b32_e32 v13, 1, v13
	v_cmp_eq_u32_e64 s[30:31], 1, v15
	v_cndmask_b32_e64 v11, 0, v11, s[4:5]
	v_cndmask_b32_e64 v13, v13, 1, s[30:31]
	v_cmp_lt_u32_e64 s[30:31], 3, v7
	v_add_u32_e32 v9, v9, v11
	v_cmp_eq_u32_e64 s[4:5], 0, v5
	v_cndmask_b32_e64 v5, v5, v13, s[30:31]
	v_mov_b32_dpp v11, v9 row_shr:4 row_mask:0xf bank_mask:0xf
	s_and_b64 s[4:5], s[30:31], s[4:5]
	v_mov_b32_dpp v13, v5 row_shr:8 row_mask:0xf bank_mask:0xf
	v_and_b32_e32 v15, 1, v5
	v_cndmask_b32_e64 v11, 0, v11, s[4:5]
	v_and_b32_e32 v13, 1, v13
	v_cmp_eq_u32_e64 s[30:31], 1, v15
	v_add_u32_e32 v9, v9, v11
	v_cmp_eq_u32_e64 s[4:5], 0, v5
	v_cndmask_b32_e64 v13, v13, 1, s[30:31]
	v_cmp_lt_u32_e64 s[30:31], 7, v7
	v_mov_b32_dpp v11, v9 row_shr:8 row_mask:0xf bank_mask:0xf
	s_and_b64 s[4:5], s[30:31], s[4:5]
	v_cndmask_b32_e64 v7, 0, v11, s[4:5]
	v_cndmask_b32_e64 v5, v5, v13, s[30:31]
	v_add_u32_e32 v7, v9, v7
	v_cmp_eq_u32_e64 s[4:5], 0, v5
	v_mov_b32_dpp v11, v5 row_bcast:15 row_mask:0xf bank_mask:0xf
	v_mov_b32_dpp v9, v7 row_bcast:15 row_mask:0xf bank_mask:0xf
	v_and_b32_e32 v17, 1, v5
	v_and_b32_e32 v15, 16, v3
	v_cndmask_b32_e64 v9, 0, v9, s[4:5]
	v_and_b32_e32 v11, 1, v11
	v_cmp_eq_u32_e64 s[4:5], 1, v17
	v_bfe_i32 v13, v3, 4, 1
	v_cndmask_b32_e64 v11, v11, 1, s[4:5]
	v_cmp_eq_u32_e64 s[4:5], 0, v15
	v_and_b32_e32 v9, v13, v9
	v_cndmask_b32_e64 v5, v11, v5, s[4:5]
	v_add_u32_e32 v9, v7, v9
	v_and_b32_e32 v13, 1, v5
	v_mov_b32_dpp v7, v5 row_bcast:31 row_mask:0xf bank_mask:0xf
	v_and_b32_e32 v7, 1, v7
	v_cmp_eq_u32_e64 s[30:31], 1, v13
	v_cmp_eq_u32_e64 s[4:5], 0, v5
	v_cndmask_b32_e64 v7, v7, 1, s[30:31]
	v_cmp_lt_u32_e64 s[30:31], 31, v3
	v_mov_b32_dpp v11, v9 row_bcast:31 row_mask:0xf bank_mask:0xf
	s_and_b64 s[4:5], s[30:31], s[4:5]
	v_cndmask_b32_e64 v7, v5, v7, s[30:31]
	v_cndmask_b32_e64 v5, 0, v11, s[4:5]
	v_add_u32_e32 v5, v9, v5
	v_cmp_eq_u32_e64 s[4:5], v48, v0
	s_and_saveexec_b64 s[30:31], s[4:5]
	s_cbranch_execz .LBB17_269
; %bb.268:
	v_lshlrev_b32_e32 v9, 3, v1
	ds_write_b32 v9, v5
	ds_write_b8 v9, v7 offset:4
.LBB17_269:
	s_or_b64 exec, exec, s[30:31]
	v_cmp_gt_u32_e64 s[4:5], 4, v0
	s_waitcnt lgkmcnt(0)
	s_barrier
	s_and_saveexec_b64 s[30:31], s[4:5]
	s_cbranch_execz .LBB17_273
; %bb.270:
	v_lshlrev_b32_e32 v9, 3, v0
	ds_read_b64 v[28:29], v9
	v_and_b32_e32 v11, 3, v3
	v_cmp_ne_u32_e64 s[4:5], 0, v11
	s_waitcnt lgkmcnt(0)
	v_mov_b32_dpp v13, v28 row_shr:1 row_mask:0xf bank_mask:0xf
	v_mov_b32_dpp v17, v29 row_shr:1 row_mask:0xf bank_mask:0xf
	v_mov_b32_e32 v15, v29
	s_and_saveexec_b64 s[34:35], s[4:5]
	s_cbranch_execz .LBB17_272
; %bb.271:
	v_and_b32_e32 v15, 1, v29
	v_and_b32_e32 v17, 1, v17
	v_cmp_eq_u32_e64 s[4:5], 1, v15
	v_mov_b32_e32 v15, 0
	v_cndmask_b32_e64 v17, v17, 1, s[4:5]
	v_cmp_eq_u16_sdwa s[4:5], v29, v15 src0_sel:BYTE_0 src1_sel:DWORD
	v_cndmask_b32_e64 v13, 0, v13, s[4:5]
	v_add_u32_e32 v28, v13, v28
	v_and_b32_e32 v13, 0xffff, v17
	s_movk_i32 s4, 0xff00
	v_and_or_b32 v15, v29, s4, v13
	v_mov_b32_e32 v29, v17
.LBB17_272:
	s_or_b64 exec, exec, s[34:35]
	v_mov_b32_dpp v15, v15 row_shr:2 row_mask:0xf bank_mask:0xf
	v_and_b32_e32 v17, 1, v29
	v_and_b32_e32 v15, 1, v15
	v_cmp_eq_u32_e64 s[4:5], 1, v17
	v_mov_b32_e32 v17, 0
	v_cndmask_b32_e64 v15, v15, 1, s[4:5]
	v_cmp_eq_u16_sdwa s[34:35], v29, v17 src0_sel:BYTE_0 src1_sel:DWORD
	v_cmp_lt_u32_e64 s[4:5], 1, v11
	v_mov_b32_dpp v13, v28 row_shr:2 row_mask:0xf bank_mask:0xf
	v_cndmask_b32_e64 v11, v29, v15, s[4:5]
	s_and_b64 s[4:5], s[4:5], s[34:35]
	v_cndmask_b32_e64 v13, 0, v13, s[4:5]
	v_add_u32_e32 v13, v13, v28
	ds_write_b32 v9, v13
	ds_write_b8 v9, v11 offset:4
.LBB17_273:
	s_or_b64 exec, exec, s[30:31]
	v_cmp_lt_u32_e64 s[4:5], 63, v0
	v_mov_b32_e32 v9, 0
	s_waitcnt lgkmcnt(0)
	s_barrier
	s_and_saveexec_b64 s[30:31], s[4:5]
	s_cbranch_execz .LBB17_275
; %bb.274:
	v_lshl_add_u32 v1, v1, 3, -8
	ds_read_b32 v9, v1
	v_cmp_eq_u32_e64 s[4:5], 0, v7
	s_waitcnt lgkmcnt(0)
	v_cndmask_b32_e64 v1, 0, v9, s[4:5]
	v_add_u32_e32 v5, v1, v5
.LBB17_275:
	s_or_b64 exec, exec, s[30:31]
	v_add_u32_e32 v1, -1, v3
	v_and_b32_e32 v7, 64, v3
	v_cmp_lt_i32_e64 s[4:5], v1, v7
	v_cndmask_b32_e64 v1, v1, v3, s[4:5]
	v_lshlrev_b32_e32 v1, 2, v1
	ds_bpermute_b32 v1, v1, v5
	s_and_saveexec_b64 s[30:31], s[36:37]
	s_cbranch_execz .LBB17_277
; %bb.276:
	v_and_b32_e32 v27, 0xff, v57
	v_mov_b32_e32 v26, 0
	v_cmp_eq_u32_e64 s[4:5], 0, v3
	s_waitcnt lgkmcnt(0)
	v_cndmask_b32_e64 v1, v1, v9, s[4:5]
	v_cmp_eq_u64_e64 s[4:5], 0, v[26:27]
	v_cndmask_b32_e64 v1, 0, v1, s[4:5]
	v_add_u32_e32 v56, v1, v56
	v_cndmask_b32_e32 v1, 0, v56, vcc
	v_add_u32_e32 v27, v1, v2
	v_cndmask_b32_e64 v1, 0, v27, s[6:7]
	v_add_u32_e32 v40, v1, v4
	v_cndmask_b32_e64 v1, 0, v40, s[8:9]
	;; [unrolled: 2-line block ×12, first 2 shown]
	v_add_u32_e32 v47, v1, v38
	;;#ASMSTART
	;;#ASMEND
.LBB17_277:
	s_or_b64 exec, exec, s[30:31]
	s_and_saveexec_b64 s[4:5], s[0:1]
	s_cbranch_execz .LBB17_279
; %bb.278:
	v_mov_b32_e32 v5, 0
	ds_read_b32 v2, v5 offset:24
	ds_read_u8 v3, v5 offset:28
	s_add_u32 s0, s56, 0x400
	s_addc_u32 s1, s57, 0
	v_mov_b32_e32 v4, 2
	v_pk_mov_b32 v[6:7], s[0:1], s[0:1] op_sel:[0,1]
	s_waitcnt lgkmcnt(0)
	;;#ASMSTART
	global_store_dwordx4 v[6:7], v[2:5] off	
s_waitcnt vmcnt(0)
	;;#ASMEND
.LBB17_279:
	s_or_b64 exec, exec, s[4:5]
	v_mov_b32_e32 v26, v56
.LBB17_280:
	s_add_u32 s0, s38, s48
	s_addc_u32 s1, s39, s49
	s_add_u32 s4, s0, s44
	s_waitcnt lgkmcnt(0)
	v_mul_u32_u24_e32 v1, 14, v0
	s_addc_u32 s5, s1, s45
	s_and_b64 vcc, exec, s[2:3]
	v_lshlrev_b32_e32 v2, 2, v1
	v_lshlrev_b32_e32 v18, 2, v0
	s_cbranch_vccz .LBB17_308
; %bb.281:
	s_movk_i32 s0, 0xffcc
	v_mad_i32_i24 v3, v0, s0, v2
	s_barrier
	ds_write2_b64 v2, v[26:27], v[40:41] offset1:1
	ds_write2_b64 v2, v[30:31], v[42:43] offset0:2 offset1:3
	ds_write2_b64 v2, v[34:35], v[44:45] offset0:4 offset1:5
	ds_write_b64 v2, v[46:47] offset:48
	s_waitcnt lgkmcnt(0)
	s_barrier
	ds_read2st64_b32 v[16:17], v3 offset0:4 offset1:8
	ds_read2st64_b32 v[14:15], v3 offset0:12 offset1:16
	ds_read2st64_b32 v[12:13], v3 offset0:20 offset1:24
	ds_read2st64_b32 v[10:11], v3 offset0:28 offset1:32
	ds_read2st64_b32 v[8:9], v3 offset0:36 offset1:40
	ds_read2st64_b32 v[4:5], v3 offset0:44 offset1:48
	ds_read_b32 v3, v3 offset:13312
	v_mov_b32_e32 v7, s5
	v_add_co_u32_e32 v6, vcc, s4, v18
	s_add_i32 s33, s33, s58
	v_addc_co_u32_e32 v7, vcc, 0, v7, vcc
	v_mov_b32_e32 v1, 0
	v_cmp_gt_u32_e32 vcc, s33, v0
	s_and_saveexec_b64 s[0:1], vcc
	s_cbranch_execz .LBB17_283
; %bb.282:
	v_mul_i32_i24_e32 v19, 0xffffffcc, v0
	v_add_u32_e32 v19, v2, v19
	ds_read_b32 v19, v19
	s_waitcnt lgkmcnt(0)
	flat_store_dword v[6:7], v19
.LBB17_283:
	s_or_b64 exec, exec, s[0:1]
	v_or_b32_e32 v19, 0x100, v0
	v_cmp_gt_u32_e32 vcc, s33, v19
	s_and_saveexec_b64 s[0:1], vcc
	s_cbranch_execz .LBB17_285
; %bb.284:
	s_waitcnt lgkmcnt(0)
	flat_store_dword v[6:7], v16 offset:1024
.LBB17_285:
	s_or_b64 exec, exec, s[0:1]
	s_waitcnt lgkmcnt(0)
	v_or_b32_e32 v16, 0x200, v0
	v_cmp_gt_u32_e32 vcc, s33, v16
	s_and_saveexec_b64 s[0:1], vcc
	s_cbranch_execz .LBB17_287
; %bb.286:
	flat_store_dword v[6:7], v17 offset:2048
.LBB17_287:
	s_or_b64 exec, exec, s[0:1]
	v_or_b32_e32 v16, 0x300, v0
	v_cmp_gt_u32_e32 vcc, s33, v16
	s_and_saveexec_b64 s[0:1], vcc
	s_cbranch_execz .LBB17_289
; %bb.288:
	flat_store_dword v[6:7], v14 offset:3072
.LBB17_289:
	s_or_b64 exec, exec, s[0:1]
	v_or_b32_e32 v14, 0x400, v0
	v_cmp_gt_u32_e32 vcc, s33, v14
	s_and_saveexec_b64 s[0:1], vcc
	s_cbranch_execz .LBB17_291
; %bb.290:
	v_add_co_u32_e32 v16, vcc, 0x1000, v6
	v_addc_co_u32_e32 v17, vcc, 0, v7, vcc
	flat_store_dword v[16:17], v15
.LBB17_291:
	s_or_b64 exec, exec, s[0:1]
	v_or_b32_e32 v14, 0x500, v0
	v_cmp_gt_u32_e32 vcc, s33, v14
	s_and_saveexec_b64 s[0:1], vcc
	s_cbranch_execz .LBB17_293
; %bb.292:
	v_add_co_u32_e32 v14, vcc, 0x1000, v6
	v_addc_co_u32_e32 v15, vcc, 0, v7, vcc
	flat_store_dword v[14:15], v12 offset:1024
.LBB17_293:
	s_or_b64 exec, exec, s[0:1]
	v_or_b32_e32 v12, 0x600, v0
	v_cmp_gt_u32_e32 vcc, s33, v12
	s_and_saveexec_b64 s[0:1], vcc
	s_cbranch_execz .LBB17_295
; %bb.294:
	v_add_co_u32_e32 v14, vcc, 0x1000, v6
	v_addc_co_u32_e32 v15, vcc, 0, v7, vcc
	flat_store_dword v[14:15], v13 offset:2048
.LBB17_295:
	;; [unrolled: 10-line block ×3, first 2 shown]
	s_or_b64 exec, exec, s[0:1]
	v_or_b32_e32 v10, 0x800, v0
	v_cmp_gt_u32_e32 vcc, s33, v10
	s_and_saveexec_b64 s[0:1], vcc
	s_cbranch_execz .LBB17_299
; %bb.298:
	v_add_co_u32_e32 v12, vcc, 0x2000, v6
	v_addc_co_u32_e32 v13, vcc, 0, v7, vcc
	flat_store_dword v[12:13], v11
.LBB17_299:
	s_or_b64 exec, exec, s[0:1]
	v_or_b32_e32 v10, 0x900, v0
	v_cmp_gt_u32_e32 vcc, s33, v10
	s_and_saveexec_b64 s[0:1], vcc
	s_cbranch_execz .LBB17_301
; %bb.300:
	v_add_co_u32_e32 v10, vcc, 0x2000, v6
	v_addc_co_u32_e32 v11, vcc, 0, v7, vcc
	flat_store_dword v[10:11], v8 offset:1024
.LBB17_301:
	s_or_b64 exec, exec, s[0:1]
	v_or_b32_e32 v8, 0xa00, v0
	v_cmp_gt_u32_e32 vcc, s33, v8
	s_and_saveexec_b64 s[0:1], vcc
	s_cbranch_execz .LBB17_303
; %bb.302:
	v_add_co_u32_e32 v10, vcc, 0x2000, v6
	v_addc_co_u32_e32 v11, vcc, 0, v7, vcc
	flat_store_dword v[10:11], v9 offset:2048
.LBB17_303:
	;; [unrolled: 10-line block ×3, first 2 shown]
	s_or_b64 exec, exec, s[0:1]
	v_or_b32_e32 v4, 0xc00, v0
	v_cmp_gt_u32_e32 vcc, s33, v4
	s_and_saveexec_b64 s[0:1], vcc
	s_cbranch_execz .LBB17_307
; %bb.306:
	v_add_co_u32_e32 v6, vcc, 0x3000, v6
	v_addc_co_u32_e32 v7, vcc, 0, v7, vcc
	flat_store_dword v[6:7], v5
.LBB17_307:
	s_or_b64 exec, exec, s[0:1]
	v_or_b32_e32 v4, 0xd00, v0
	v_cmp_gt_u32_e64 s[0:1], s33, v4
	s_branch .LBB17_310
.LBB17_308:
	s_mov_b64 s[0:1], 0
                                        ; implicit-def: $vgpr3
	s_cbranch_execz .LBB17_310
; %bb.309:
	s_movk_i32 s2, 0xffcc
	s_waitcnt lgkmcnt(0)
	s_barrier
	ds_write2_b64 v2, v[26:27], v[40:41] offset1:1
	ds_write2_b64 v2, v[30:31], v[42:43] offset0:2 offset1:3
	ds_write2_b64 v2, v[34:35], v[44:45] offset0:4 offset1:5
	ds_write_b64 v2, v[46:47] offset:48
	v_mad_i32_i24 v2, v0, s2, v2
	v_mov_b32_e32 v17, s5
	v_add_co_u32_e32 v16, vcc, s4, v18
	s_waitcnt lgkmcnt(0)
	s_barrier
	ds_read2st64_b32 v[4:5], v2 offset1:4
	ds_read2st64_b32 v[6:7], v2 offset0:8 offset1:12
	ds_read2st64_b32 v[8:9], v2 offset0:16 offset1:20
	;; [unrolled: 1-line block ×6, first 2 shown]
	v_addc_co_u32_e32 v17, vcc, 0, v17, vcc
	s_movk_i32 s2, 0x1000
	s_waitcnt lgkmcnt(0)
	flat_store_dword v[16:17], v4
	flat_store_dword v[16:17], v5 offset:1024
	flat_store_dword v[16:17], v6 offset:2048
	;; [unrolled: 1-line block ×3, first 2 shown]
	v_add_co_u32_e32 v4, vcc, s2, v16
	v_addc_co_u32_e32 v5, vcc, 0, v17, vcc
	flat_store_dword v[4:5], v8
	flat_store_dword v[4:5], v9 offset:1024
	flat_store_dword v[4:5], v10 offset:2048
	;; [unrolled: 1-line block ×3, first 2 shown]
	v_add_co_u32_e32 v4, vcc, 0x2000, v16
	v_addc_co_u32_e32 v5, vcc, 0, v17, vcc
	flat_store_dword v[4:5], v12
	flat_store_dword v[4:5], v13 offset:1024
	flat_store_dword v[4:5], v14 offset:2048
	;; [unrolled: 1-line block ×3, first 2 shown]
	v_add_co_u32_e32 v4, vcc, 0x3000, v16
	v_mov_b32_e32 v1, 0
	v_addc_co_u32_e32 v5, vcc, 0, v17, vcc
	s_or_b64 s[0:1], s[0:1], exec
	flat_store_dword v[4:5], v2
.LBB17_310:
	s_and_saveexec_b64 s[2:3], s[0:1]
	s_cbranch_execnz .LBB17_312
; %bb.311:
	s_endpgm
.LBB17_312:
	v_lshlrev_b64 v[0:1], 2, v[0:1]
	v_mov_b32_e32 v2, s5
	v_add_co_u32_e32 v0, vcc, s4, v0
	v_addc_co_u32_e32 v1, vcc, v2, v1, vcc
	v_add_co_u32_e32 v0, vcc, 0x3000, v0
	v_addc_co_u32_e32 v1, vcc, 0, v1, vcc
	flat_store_dword v[0:1], v3 offset:1024
	s_endpgm
.LBB17_313:
                                        ; implicit-def: $vgpr6_vgpr7
	s_branch .LBB17_225
.LBB17_314:
                                        ; implicit-def: $vgpr54_vgpr55
	s_andn2_b64 vcc, exec, s[64:65]
	s_cbranch_vccz .LBB17_100
	s_branch .LBB17_101
.LBB17_315:
                                        ; implicit-def: $vgpr6_vgpr7
	s_andn2_b64 vcc, exec, s[8:9]
	s_cbranch_vccz .LBB17_221
	s_branch .LBB17_222
	.section	.rodata,"a",@progbits
	.p2align	6, 0x0
	.amdhsa_kernel _ZN7rocprim17ROCPRIM_400000_NS6detail17trampoline_kernelINS0_14default_configENS1_27scan_by_key_config_selectorImiEEZZNS1_16scan_by_key_implILNS1_25lookback_scan_determinismE0ELb0ES3_N6thrust23THRUST_200600_302600_NS18transform_iteratorI9row_indexNS9_17counting_iteratorImNS9_11use_defaultESD_SD_EESD_SD_EENS9_6detail15normal_iteratorINS9_10device_ptrIiEEEESK_iNS9_4plusIvEENS9_8equal_toIvEEiEE10hipError_tPvRmT2_T3_T4_T5_mT6_T7_P12ihipStream_tbENKUlT_T0_E_clISt17integral_constantIbLb1EES15_EEDaS10_S11_EUlS10_E_NS1_11comp_targetILNS1_3genE4ELNS1_11target_archE910ELNS1_3gpuE8ELNS1_3repE0EEENS1_30default_config_static_selectorELNS0_4arch9wavefront6targetE1EEEvT1_
		.amdhsa_group_segment_fixed_size 32768
		.amdhsa_private_segment_fixed_size 0
		.amdhsa_kernarg_size 120
		.amdhsa_user_sgpr_count 6
		.amdhsa_user_sgpr_private_segment_buffer 1
		.amdhsa_user_sgpr_dispatch_ptr 0
		.amdhsa_user_sgpr_queue_ptr 0
		.amdhsa_user_sgpr_kernarg_segment_ptr 1
		.amdhsa_user_sgpr_dispatch_id 0
		.amdhsa_user_sgpr_flat_scratch_init 0
		.amdhsa_user_sgpr_kernarg_preload_length 0
		.amdhsa_user_sgpr_kernarg_preload_offset 0
		.amdhsa_user_sgpr_private_segment_size 0
		.amdhsa_uses_dynamic_stack 0
		.amdhsa_system_sgpr_private_segment_wavefront_offset 0
		.amdhsa_system_sgpr_workgroup_id_x 1
		.amdhsa_system_sgpr_workgroup_id_y 0
		.amdhsa_system_sgpr_workgroup_id_z 0
		.amdhsa_system_sgpr_workgroup_info 0
		.amdhsa_system_vgpr_workitem_id 0
		.amdhsa_next_free_vgpr 65
		.amdhsa_next_free_sgpr 76
		.amdhsa_accum_offset 68
		.amdhsa_reserve_vcc 1
		.amdhsa_reserve_flat_scratch 0
		.amdhsa_float_round_mode_32 0
		.amdhsa_float_round_mode_16_64 0
		.amdhsa_float_denorm_mode_32 3
		.amdhsa_float_denorm_mode_16_64 3
		.amdhsa_dx10_clamp 1
		.amdhsa_ieee_mode 1
		.amdhsa_fp16_overflow 0
		.amdhsa_tg_split 0
		.amdhsa_exception_fp_ieee_invalid_op 0
		.amdhsa_exception_fp_denorm_src 0
		.amdhsa_exception_fp_ieee_div_zero 0
		.amdhsa_exception_fp_ieee_overflow 0
		.amdhsa_exception_fp_ieee_underflow 0
		.amdhsa_exception_fp_ieee_inexact 0
		.amdhsa_exception_int_div_zero 0
	.end_amdhsa_kernel
	.section	.text._ZN7rocprim17ROCPRIM_400000_NS6detail17trampoline_kernelINS0_14default_configENS1_27scan_by_key_config_selectorImiEEZZNS1_16scan_by_key_implILNS1_25lookback_scan_determinismE0ELb0ES3_N6thrust23THRUST_200600_302600_NS18transform_iteratorI9row_indexNS9_17counting_iteratorImNS9_11use_defaultESD_SD_EESD_SD_EENS9_6detail15normal_iteratorINS9_10device_ptrIiEEEESK_iNS9_4plusIvEENS9_8equal_toIvEEiEE10hipError_tPvRmT2_T3_T4_T5_mT6_T7_P12ihipStream_tbENKUlT_T0_E_clISt17integral_constantIbLb1EES15_EEDaS10_S11_EUlS10_E_NS1_11comp_targetILNS1_3genE4ELNS1_11target_archE910ELNS1_3gpuE8ELNS1_3repE0EEENS1_30default_config_static_selectorELNS0_4arch9wavefront6targetE1EEEvT1_,"axG",@progbits,_ZN7rocprim17ROCPRIM_400000_NS6detail17trampoline_kernelINS0_14default_configENS1_27scan_by_key_config_selectorImiEEZZNS1_16scan_by_key_implILNS1_25lookback_scan_determinismE0ELb0ES3_N6thrust23THRUST_200600_302600_NS18transform_iteratorI9row_indexNS9_17counting_iteratorImNS9_11use_defaultESD_SD_EESD_SD_EENS9_6detail15normal_iteratorINS9_10device_ptrIiEEEESK_iNS9_4plusIvEENS9_8equal_toIvEEiEE10hipError_tPvRmT2_T3_T4_T5_mT6_T7_P12ihipStream_tbENKUlT_T0_E_clISt17integral_constantIbLb1EES15_EEDaS10_S11_EUlS10_E_NS1_11comp_targetILNS1_3genE4ELNS1_11target_archE910ELNS1_3gpuE8ELNS1_3repE0EEENS1_30default_config_static_selectorELNS0_4arch9wavefront6targetE1EEEvT1_,comdat
.Lfunc_end17:
	.size	_ZN7rocprim17ROCPRIM_400000_NS6detail17trampoline_kernelINS0_14default_configENS1_27scan_by_key_config_selectorImiEEZZNS1_16scan_by_key_implILNS1_25lookback_scan_determinismE0ELb0ES3_N6thrust23THRUST_200600_302600_NS18transform_iteratorI9row_indexNS9_17counting_iteratorImNS9_11use_defaultESD_SD_EESD_SD_EENS9_6detail15normal_iteratorINS9_10device_ptrIiEEEESK_iNS9_4plusIvEENS9_8equal_toIvEEiEE10hipError_tPvRmT2_T3_T4_T5_mT6_T7_P12ihipStream_tbENKUlT_T0_E_clISt17integral_constantIbLb1EES15_EEDaS10_S11_EUlS10_E_NS1_11comp_targetILNS1_3genE4ELNS1_11target_archE910ELNS1_3gpuE8ELNS1_3repE0EEENS1_30default_config_static_selectorELNS0_4arch9wavefront6targetE1EEEvT1_, .Lfunc_end17-_ZN7rocprim17ROCPRIM_400000_NS6detail17trampoline_kernelINS0_14default_configENS1_27scan_by_key_config_selectorImiEEZZNS1_16scan_by_key_implILNS1_25lookback_scan_determinismE0ELb0ES3_N6thrust23THRUST_200600_302600_NS18transform_iteratorI9row_indexNS9_17counting_iteratorImNS9_11use_defaultESD_SD_EESD_SD_EENS9_6detail15normal_iteratorINS9_10device_ptrIiEEEESK_iNS9_4plusIvEENS9_8equal_toIvEEiEE10hipError_tPvRmT2_T3_T4_T5_mT6_T7_P12ihipStream_tbENKUlT_T0_E_clISt17integral_constantIbLb1EES15_EEDaS10_S11_EUlS10_E_NS1_11comp_targetILNS1_3genE4ELNS1_11target_archE910ELNS1_3gpuE8ELNS1_3repE0EEENS1_30default_config_static_selectorELNS0_4arch9wavefront6targetE1EEEvT1_
                                        ; -- End function
	.section	.AMDGPU.csdata,"",@progbits
; Kernel info:
; codeLenInByte = 34896
; NumSgprs: 80
; NumVgprs: 65
; NumAgprs: 0
; TotalNumVgprs: 65
; ScratchSize: 0
; MemoryBound: 0
; FloatMode: 240
; IeeeMode: 1
; LDSByteSize: 32768 bytes/workgroup (compile time only)
; SGPRBlocks: 9
; VGPRBlocks: 8
; NumSGPRsForWavesPerEU: 80
; NumVGPRsForWavesPerEU: 65
; AccumOffset: 68
; Occupancy: 2
; WaveLimiterHint : 1
; COMPUTE_PGM_RSRC2:SCRATCH_EN: 0
; COMPUTE_PGM_RSRC2:USER_SGPR: 6
; COMPUTE_PGM_RSRC2:TRAP_HANDLER: 0
; COMPUTE_PGM_RSRC2:TGID_X_EN: 1
; COMPUTE_PGM_RSRC2:TGID_Y_EN: 0
; COMPUTE_PGM_RSRC2:TGID_Z_EN: 0
; COMPUTE_PGM_RSRC2:TIDIG_COMP_CNT: 0
; COMPUTE_PGM_RSRC3_GFX90A:ACCUM_OFFSET: 16
; COMPUTE_PGM_RSRC3_GFX90A:TG_SPLIT: 0
	.section	.text._ZN7rocprim17ROCPRIM_400000_NS6detail17trampoline_kernelINS0_14default_configENS1_27scan_by_key_config_selectorImiEEZZNS1_16scan_by_key_implILNS1_25lookback_scan_determinismE0ELb0ES3_N6thrust23THRUST_200600_302600_NS18transform_iteratorI9row_indexNS9_17counting_iteratorImNS9_11use_defaultESD_SD_EESD_SD_EENS9_6detail15normal_iteratorINS9_10device_ptrIiEEEESK_iNS9_4plusIvEENS9_8equal_toIvEEiEE10hipError_tPvRmT2_T3_T4_T5_mT6_T7_P12ihipStream_tbENKUlT_T0_E_clISt17integral_constantIbLb1EES15_EEDaS10_S11_EUlS10_E_NS1_11comp_targetILNS1_3genE3ELNS1_11target_archE908ELNS1_3gpuE7ELNS1_3repE0EEENS1_30default_config_static_selectorELNS0_4arch9wavefront6targetE1EEEvT1_,"axG",@progbits,_ZN7rocprim17ROCPRIM_400000_NS6detail17trampoline_kernelINS0_14default_configENS1_27scan_by_key_config_selectorImiEEZZNS1_16scan_by_key_implILNS1_25lookback_scan_determinismE0ELb0ES3_N6thrust23THRUST_200600_302600_NS18transform_iteratorI9row_indexNS9_17counting_iteratorImNS9_11use_defaultESD_SD_EESD_SD_EENS9_6detail15normal_iteratorINS9_10device_ptrIiEEEESK_iNS9_4plusIvEENS9_8equal_toIvEEiEE10hipError_tPvRmT2_T3_T4_T5_mT6_T7_P12ihipStream_tbENKUlT_T0_E_clISt17integral_constantIbLb1EES15_EEDaS10_S11_EUlS10_E_NS1_11comp_targetILNS1_3genE3ELNS1_11target_archE908ELNS1_3gpuE7ELNS1_3repE0EEENS1_30default_config_static_selectorELNS0_4arch9wavefront6targetE1EEEvT1_,comdat
	.protected	_ZN7rocprim17ROCPRIM_400000_NS6detail17trampoline_kernelINS0_14default_configENS1_27scan_by_key_config_selectorImiEEZZNS1_16scan_by_key_implILNS1_25lookback_scan_determinismE0ELb0ES3_N6thrust23THRUST_200600_302600_NS18transform_iteratorI9row_indexNS9_17counting_iteratorImNS9_11use_defaultESD_SD_EESD_SD_EENS9_6detail15normal_iteratorINS9_10device_ptrIiEEEESK_iNS9_4plusIvEENS9_8equal_toIvEEiEE10hipError_tPvRmT2_T3_T4_T5_mT6_T7_P12ihipStream_tbENKUlT_T0_E_clISt17integral_constantIbLb1EES15_EEDaS10_S11_EUlS10_E_NS1_11comp_targetILNS1_3genE3ELNS1_11target_archE908ELNS1_3gpuE7ELNS1_3repE0EEENS1_30default_config_static_selectorELNS0_4arch9wavefront6targetE1EEEvT1_ ; -- Begin function _ZN7rocprim17ROCPRIM_400000_NS6detail17trampoline_kernelINS0_14default_configENS1_27scan_by_key_config_selectorImiEEZZNS1_16scan_by_key_implILNS1_25lookback_scan_determinismE0ELb0ES3_N6thrust23THRUST_200600_302600_NS18transform_iteratorI9row_indexNS9_17counting_iteratorImNS9_11use_defaultESD_SD_EESD_SD_EENS9_6detail15normal_iteratorINS9_10device_ptrIiEEEESK_iNS9_4plusIvEENS9_8equal_toIvEEiEE10hipError_tPvRmT2_T3_T4_T5_mT6_T7_P12ihipStream_tbENKUlT_T0_E_clISt17integral_constantIbLb1EES15_EEDaS10_S11_EUlS10_E_NS1_11comp_targetILNS1_3genE3ELNS1_11target_archE908ELNS1_3gpuE7ELNS1_3repE0EEENS1_30default_config_static_selectorELNS0_4arch9wavefront6targetE1EEEvT1_
	.globl	_ZN7rocprim17ROCPRIM_400000_NS6detail17trampoline_kernelINS0_14default_configENS1_27scan_by_key_config_selectorImiEEZZNS1_16scan_by_key_implILNS1_25lookback_scan_determinismE0ELb0ES3_N6thrust23THRUST_200600_302600_NS18transform_iteratorI9row_indexNS9_17counting_iteratorImNS9_11use_defaultESD_SD_EESD_SD_EENS9_6detail15normal_iteratorINS9_10device_ptrIiEEEESK_iNS9_4plusIvEENS9_8equal_toIvEEiEE10hipError_tPvRmT2_T3_T4_T5_mT6_T7_P12ihipStream_tbENKUlT_T0_E_clISt17integral_constantIbLb1EES15_EEDaS10_S11_EUlS10_E_NS1_11comp_targetILNS1_3genE3ELNS1_11target_archE908ELNS1_3gpuE7ELNS1_3repE0EEENS1_30default_config_static_selectorELNS0_4arch9wavefront6targetE1EEEvT1_
	.p2align	8
	.type	_ZN7rocprim17ROCPRIM_400000_NS6detail17trampoline_kernelINS0_14default_configENS1_27scan_by_key_config_selectorImiEEZZNS1_16scan_by_key_implILNS1_25lookback_scan_determinismE0ELb0ES3_N6thrust23THRUST_200600_302600_NS18transform_iteratorI9row_indexNS9_17counting_iteratorImNS9_11use_defaultESD_SD_EESD_SD_EENS9_6detail15normal_iteratorINS9_10device_ptrIiEEEESK_iNS9_4plusIvEENS9_8equal_toIvEEiEE10hipError_tPvRmT2_T3_T4_T5_mT6_T7_P12ihipStream_tbENKUlT_T0_E_clISt17integral_constantIbLb1EES15_EEDaS10_S11_EUlS10_E_NS1_11comp_targetILNS1_3genE3ELNS1_11target_archE908ELNS1_3gpuE7ELNS1_3repE0EEENS1_30default_config_static_selectorELNS0_4arch9wavefront6targetE1EEEvT1_,@function
_ZN7rocprim17ROCPRIM_400000_NS6detail17trampoline_kernelINS0_14default_configENS1_27scan_by_key_config_selectorImiEEZZNS1_16scan_by_key_implILNS1_25lookback_scan_determinismE0ELb0ES3_N6thrust23THRUST_200600_302600_NS18transform_iteratorI9row_indexNS9_17counting_iteratorImNS9_11use_defaultESD_SD_EESD_SD_EENS9_6detail15normal_iteratorINS9_10device_ptrIiEEEESK_iNS9_4plusIvEENS9_8equal_toIvEEiEE10hipError_tPvRmT2_T3_T4_T5_mT6_T7_P12ihipStream_tbENKUlT_T0_E_clISt17integral_constantIbLb1EES15_EEDaS10_S11_EUlS10_E_NS1_11comp_targetILNS1_3genE3ELNS1_11target_archE908ELNS1_3gpuE7ELNS1_3repE0EEENS1_30default_config_static_selectorELNS0_4arch9wavefront6targetE1EEEvT1_: ; @_ZN7rocprim17ROCPRIM_400000_NS6detail17trampoline_kernelINS0_14default_configENS1_27scan_by_key_config_selectorImiEEZZNS1_16scan_by_key_implILNS1_25lookback_scan_determinismE0ELb0ES3_N6thrust23THRUST_200600_302600_NS18transform_iteratorI9row_indexNS9_17counting_iteratorImNS9_11use_defaultESD_SD_EESD_SD_EENS9_6detail15normal_iteratorINS9_10device_ptrIiEEEESK_iNS9_4plusIvEENS9_8equal_toIvEEiEE10hipError_tPvRmT2_T3_T4_T5_mT6_T7_P12ihipStream_tbENKUlT_T0_E_clISt17integral_constantIbLb1EES15_EEDaS10_S11_EUlS10_E_NS1_11comp_targetILNS1_3genE3ELNS1_11target_archE908ELNS1_3gpuE7ELNS1_3repE0EEENS1_30default_config_static_selectorELNS0_4arch9wavefront6targetE1EEEvT1_
; %bb.0:
	.section	.rodata,"a",@progbits
	.p2align	6, 0x0
	.amdhsa_kernel _ZN7rocprim17ROCPRIM_400000_NS6detail17trampoline_kernelINS0_14default_configENS1_27scan_by_key_config_selectorImiEEZZNS1_16scan_by_key_implILNS1_25lookback_scan_determinismE0ELb0ES3_N6thrust23THRUST_200600_302600_NS18transform_iteratorI9row_indexNS9_17counting_iteratorImNS9_11use_defaultESD_SD_EESD_SD_EENS9_6detail15normal_iteratorINS9_10device_ptrIiEEEESK_iNS9_4plusIvEENS9_8equal_toIvEEiEE10hipError_tPvRmT2_T3_T4_T5_mT6_T7_P12ihipStream_tbENKUlT_T0_E_clISt17integral_constantIbLb1EES15_EEDaS10_S11_EUlS10_E_NS1_11comp_targetILNS1_3genE3ELNS1_11target_archE908ELNS1_3gpuE7ELNS1_3repE0EEENS1_30default_config_static_selectorELNS0_4arch9wavefront6targetE1EEEvT1_
		.amdhsa_group_segment_fixed_size 0
		.amdhsa_private_segment_fixed_size 0
		.amdhsa_kernarg_size 120
		.amdhsa_user_sgpr_count 6
		.amdhsa_user_sgpr_private_segment_buffer 1
		.amdhsa_user_sgpr_dispatch_ptr 0
		.amdhsa_user_sgpr_queue_ptr 0
		.amdhsa_user_sgpr_kernarg_segment_ptr 1
		.amdhsa_user_sgpr_dispatch_id 0
		.amdhsa_user_sgpr_flat_scratch_init 0
		.amdhsa_user_sgpr_kernarg_preload_length 0
		.amdhsa_user_sgpr_kernarg_preload_offset 0
		.amdhsa_user_sgpr_private_segment_size 0
		.amdhsa_uses_dynamic_stack 0
		.amdhsa_system_sgpr_private_segment_wavefront_offset 0
		.amdhsa_system_sgpr_workgroup_id_x 1
		.amdhsa_system_sgpr_workgroup_id_y 0
		.amdhsa_system_sgpr_workgroup_id_z 0
		.amdhsa_system_sgpr_workgroup_info 0
		.amdhsa_system_vgpr_workitem_id 0
		.amdhsa_next_free_vgpr 1
		.amdhsa_next_free_sgpr 0
		.amdhsa_accum_offset 4
		.amdhsa_reserve_vcc 0
		.amdhsa_reserve_flat_scratch 0
		.amdhsa_float_round_mode_32 0
		.amdhsa_float_round_mode_16_64 0
		.amdhsa_float_denorm_mode_32 3
		.amdhsa_float_denorm_mode_16_64 3
		.amdhsa_dx10_clamp 1
		.amdhsa_ieee_mode 1
		.amdhsa_fp16_overflow 0
		.amdhsa_tg_split 0
		.amdhsa_exception_fp_ieee_invalid_op 0
		.amdhsa_exception_fp_denorm_src 0
		.amdhsa_exception_fp_ieee_div_zero 0
		.amdhsa_exception_fp_ieee_overflow 0
		.amdhsa_exception_fp_ieee_underflow 0
		.amdhsa_exception_fp_ieee_inexact 0
		.amdhsa_exception_int_div_zero 0
	.end_amdhsa_kernel
	.section	.text._ZN7rocprim17ROCPRIM_400000_NS6detail17trampoline_kernelINS0_14default_configENS1_27scan_by_key_config_selectorImiEEZZNS1_16scan_by_key_implILNS1_25lookback_scan_determinismE0ELb0ES3_N6thrust23THRUST_200600_302600_NS18transform_iteratorI9row_indexNS9_17counting_iteratorImNS9_11use_defaultESD_SD_EESD_SD_EENS9_6detail15normal_iteratorINS9_10device_ptrIiEEEESK_iNS9_4plusIvEENS9_8equal_toIvEEiEE10hipError_tPvRmT2_T3_T4_T5_mT6_T7_P12ihipStream_tbENKUlT_T0_E_clISt17integral_constantIbLb1EES15_EEDaS10_S11_EUlS10_E_NS1_11comp_targetILNS1_3genE3ELNS1_11target_archE908ELNS1_3gpuE7ELNS1_3repE0EEENS1_30default_config_static_selectorELNS0_4arch9wavefront6targetE1EEEvT1_,"axG",@progbits,_ZN7rocprim17ROCPRIM_400000_NS6detail17trampoline_kernelINS0_14default_configENS1_27scan_by_key_config_selectorImiEEZZNS1_16scan_by_key_implILNS1_25lookback_scan_determinismE0ELb0ES3_N6thrust23THRUST_200600_302600_NS18transform_iteratorI9row_indexNS9_17counting_iteratorImNS9_11use_defaultESD_SD_EESD_SD_EENS9_6detail15normal_iteratorINS9_10device_ptrIiEEEESK_iNS9_4plusIvEENS9_8equal_toIvEEiEE10hipError_tPvRmT2_T3_T4_T5_mT6_T7_P12ihipStream_tbENKUlT_T0_E_clISt17integral_constantIbLb1EES15_EEDaS10_S11_EUlS10_E_NS1_11comp_targetILNS1_3genE3ELNS1_11target_archE908ELNS1_3gpuE7ELNS1_3repE0EEENS1_30default_config_static_selectorELNS0_4arch9wavefront6targetE1EEEvT1_,comdat
.Lfunc_end18:
	.size	_ZN7rocprim17ROCPRIM_400000_NS6detail17trampoline_kernelINS0_14default_configENS1_27scan_by_key_config_selectorImiEEZZNS1_16scan_by_key_implILNS1_25lookback_scan_determinismE0ELb0ES3_N6thrust23THRUST_200600_302600_NS18transform_iteratorI9row_indexNS9_17counting_iteratorImNS9_11use_defaultESD_SD_EESD_SD_EENS9_6detail15normal_iteratorINS9_10device_ptrIiEEEESK_iNS9_4plusIvEENS9_8equal_toIvEEiEE10hipError_tPvRmT2_T3_T4_T5_mT6_T7_P12ihipStream_tbENKUlT_T0_E_clISt17integral_constantIbLb1EES15_EEDaS10_S11_EUlS10_E_NS1_11comp_targetILNS1_3genE3ELNS1_11target_archE908ELNS1_3gpuE7ELNS1_3repE0EEENS1_30default_config_static_selectorELNS0_4arch9wavefront6targetE1EEEvT1_, .Lfunc_end18-_ZN7rocprim17ROCPRIM_400000_NS6detail17trampoline_kernelINS0_14default_configENS1_27scan_by_key_config_selectorImiEEZZNS1_16scan_by_key_implILNS1_25lookback_scan_determinismE0ELb0ES3_N6thrust23THRUST_200600_302600_NS18transform_iteratorI9row_indexNS9_17counting_iteratorImNS9_11use_defaultESD_SD_EESD_SD_EENS9_6detail15normal_iteratorINS9_10device_ptrIiEEEESK_iNS9_4plusIvEENS9_8equal_toIvEEiEE10hipError_tPvRmT2_T3_T4_T5_mT6_T7_P12ihipStream_tbENKUlT_T0_E_clISt17integral_constantIbLb1EES15_EEDaS10_S11_EUlS10_E_NS1_11comp_targetILNS1_3genE3ELNS1_11target_archE908ELNS1_3gpuE7ELNS1_3repE0EEENS1_30default_config_static_selectorELNS0_4arch9wavefront6targetE1EEEvT1_
                                        ; -- End function
	.section	.AMDGPU.csdata,"",@progbits
; Kernel info:
; codeLenInByte = 0
; NumSgprs: 4
; NumVgprs: 0
; NumAgprs: 0
; TotalNumVgprs: 0
; ScratchSize: 0
; MemoryBound: 0
; FloatMode: 240
; IeeeMode: 1
; LDSByteSize: 0 bytes/workgroup (compile time only)
; SGPRBlocks: 0
; VGPRBlocks: 0
; NumSGPRsForWavesPerEU: 4
; NumVGPRsForWavesPerEU: 1
; AccumOffset: 4
; Occupancy: 8
; WaveLimiterHint : 0
; COMPUTE_PGM_RSRC2:SCRATCH_EN: 0
; COMPUTE_PGM_RSRC2:USER_SGPR: 6
; COMPUTE_PGM_RSRC2:TRAP_HANDLER: 0
; COMPUTE_PGM_RSRC2:TGID_X_EN: 1
; COMPUTE_PGM_RSRC2:TGID_Y_EN: 0
; COMPUTE_PGM_RSRC2:TGID_Z_EN: 0
; COMPUTE_PGM_RSRC2:TIDIG_COMP_CNT: 0
; COMPUTE_PGM_RSRC3_GFX90A:ACCUM_OFFSET: 0
; COMPUTE_PGM_RSRC3_GFX90A:TG_SPLIT: 0
	.section	.text._ZN7rocprim17ROCPRIM_400000_NS6detail17trampoline_kernelINS0_14default_configENS1_27scan_by_key_config_selectorImiEEZZNS1_16scan_by_key_implILNS1_25lookback_scan_determinismE0ELb0ES3_N6thrust23THRUST_200600_302600_NS18transform_iteratorI9row_indexNS9_17counting_iteratorImNS9_11use_defaultESD_SD_EESD_SD_EENS9_6detail15normal_iteratorINS9_10device_ptrIiEEEESK_iNS9_4plusIvEENS9_8equal_toIvEEiEE10hipError_tPvRmT2_T3_T4_T5_mT6_T7_P12ihipStream_tbENKUlT_T0_E_clISt17integral_constantIbLb1EES15_EEDaS10_S11_EUlS10_E_NS1_11comp_targetILNS1_3genE2ELNS1_11target_archE906ELNS1_3gpuE6ELNS1_3repE0EEENS1_30default_config_static_selectorELNS0_4arch9wavefront6targetE1EEEvT1_,"axG",@progbits,_ZN7rocprim17ROCPRIM_400000_NS6detail17trampoline_kernelINS0_14default_configENS1_27scan_by_key_config_selectorImiEEZZNS1_16scan_by_key_implILNS1_25lookback_scan_determinismE0ELb0ES3_N6thrust23THRUST_200600_302600_NS18transform_iteratorI9row_indexNS9_17counting_iteratorImNS9_11use_defaultESD_SD_EESD_SD_EENS9_6detail15normal_iteratorINS9_10device_ptrIiEEEESK_iNS9_4plusIvEENS9_8equal_toIvEEiEE10hipError_tPvRmT2_T3_T4_T5_mT6_T7_P12ihipStream_tbENKUlT_T0_E_clISt17integral_constantIbLb1EES15_EEDaS10_S11_EUlS10_E_NS1_11comp_targetILNS1_3genE2ELNS1_11target_archE906ELNS1_3gpuE6ELNS1_3repE0EEENS1_30default_config_static_selectorELNS0_4arch9wavefront6targetE1EEEvT1_,comdat
	.protected	_ZN7rocprim17ROCPRIM_400000_NS6detail17trampoline_kernelINS0_14default_configENS1_27scan_by_key_config_selectorImiEEZZNS1_16scan_by_key_implILNS1_25lookback_scan_determinismE0ELb0ES3_N6thrust23THRUST_200600_302600_NS18transform_iteratorI9row_indexNS9_17counting_iteratorImNS9_11use_defaultESD_SD_EESD_SD_EENS9_6detail15normal_iteratorINS9_10device_ptrIiEEEESK_iNS9_4plusIvEENS9_8equal_toIvEEiEE10hipError_tPvRmT2_T3_T4_T5_mT6_T7_P12ihipStream_tbENKUlT_T0_E_clISt17integral_constantIbLb1EES15_EEDaS10_S11_EUlS10_E_NS1_11comp_targetILNS1_3genE2ELNS1_11target_archE906ELNS1_3gpuE6ELNS1_3repE0EEENS1_30default_config_static_selectorELNS0_4arch9wavefront6targetE1EEEvT1_ ; -- Begin function _ZN7rocprim17ROCPRIM_400000_NS6detail17trampoline_kernelINS0_14default_configENS1_27scan_by_key_config_selectorImiEEZZNS1_16scan_by_key_implILNS1_25lookback_scan_determinismE0ELb0ES3_N6thrust23THRUST_200600_302600_NS18transform_iteratorI9row_indexNS9_17counting_iteratorImNS9_11use_defaultESD_SD_EESD_SD_EENS9_6detail15normal_iteratorINS9_10device_ptrIiEEEESK_iNS9_4plusIvEENS9_8equal_toIvEEiEE10hipError_tPvRmT2_T3_T4_T5_mT6_T7_P12ihipStream_tbENKUlT_T0_E_clISt17integral_constantIbLb1EES15_EEDaS10_S11_EUlS10_E_NS1_11comp_targetILNS1_3genE2ELNS1_11target_archE906ELNS1_3gpuE6ELNS1_3repE0EEENS1_30default_config_static_selectorELNS0_4arch9wavefront6targetE1EEEvT1_
	.globl	_ZN7rocprim17ROCPRIM_400000_NS6detail17trampoline_kernelINS0_14default_configENS1_27scan_by_key_config_selectorImiEEZZNS1_16scan_by_key_implILNS1_25lookback_scan_determinismE0ELb0ES3_N6thrust23THRUST_200600_302600_NS18transform_iteratorI9row_indexNS9_17counting_iteratorImNS9_11use_defaultESD_SD_EESD_SD_EENS9_6detail15normal_iteratorINS9_10device_ptrIiEEEESK_iNS9_4plusIvEENS9_8equal_toIvEEiEE10hipError_tPvRmT2_T3_T4_T5_mT6_T7_P12ihipStream_tbENKUlT_T0_E_clISt17integral_constantIbLb1EES15_EEDaS10_S11_EUlS10_E_NS1_11comp_targetILNS1_3genE2ELNS1_11target_archE906ELNS1_3gpuE6ELNS1_3repE0EEENS1_30default_config_static_selectorELNS0_4arch9wavefront6targetE1EEEvT1_
	.p2align	8
	.type	_ZN7rocprim17ROCPRIM_400000_NS6detail17trampoline_kernelINS0_14default_configENS1_27scan_by_key_config_selectorImiEEZZNS1_16scan_by_key_implILNS1_25lookback_scan_determinismE0ELb0ES3_N6thrust23THRUST_200600_302600_NS18transform_iteratorI9row_indexNS9_17counting_iteratorImNS9_11use_defaultESD_SD_EESD_SD_EENS9_6detail15normal_iteratorINS9_10device_ptrIiEEEESK_iNS9_4plusIvEENS9_8equal_toIvEEiEE10hipError_tPvRmT2_T3_T4_T5_mT6_T7_P12ihipStream_tbENKUlT_T0_E_clISt17integral_constantIbLb1EES15_EEDaS10_S11_EUlS10_E_NS1_11comp_targetILNS1_3genE2ELNS1_11target_archE906ELNS1_3gpuE6ELNS1_3repE0EEENS1_30default_config_static_selectorELNS0_4arch9wavefront6targetE1EEEvT1_,@function
_ZN7rocprim17ROCPRIM_400000_NS6detail17trampoline_kernelINS0_14default_configENS1_27scan_by_key_config_selectorImiEEZZNS1_16scan_by_key_implILNS1_25lookback_scan_determinismE0ELb0ES3_N6thrust23THRUST_200600_302600_NS18transform_iteratorI9row_indexNS9_17counting_iteratorImNS9_11use_defaultESD_SD_EESD_SD_EENS9_6detail15normal_iteratorINS9_10device_ptrIiEEEESK_iNS9_4plusIvEENS9_8equal_toIvEEiEE10hipError_tPvRmT2_T3_T4_T5_mT6_T7_P12ihipStream_tbENKUlT_T0_E_clISt17integral_constantIbLb1EES15_EEDaS10_S11_EUlS10_E_NS1_11comp_targetILNS1_3genE2ELNS1_11target_archE906ELNS1_3gpuE6ELNS1_3repE0EEENS1_30default_config_static_selectorELNS0_4arch9wavefront6targetE1EEEvT1_: ; @_ZN7rocprim17ROCPRIM_400000_NS6detail17trampoline_kernelINS0_14default_configENS1_27scan_by_key_config_selectorImiEEZZNS1_16scan_by_key_implILNS1_25lookback_scan_determinismE0ELb0ES3_N6thrust23THRUST_200600_302600_NS18transform_iteratorI9row_indexNS9_17counting_iteratorImNS9_11use_defaultESD_SD_EESD_SD_EENS9_6detail15normal_iteratorINS9_10device_ptrIiEEEESK_iNS9_4plusIvEENS9_8equal_toIvEEiEE10hipError_tPvRmT2_T3_T4_T5_mT6_T7_P12ihipStream_tbENKUlT_T0_E_clISt17integral_constantIbLb1EES15_EEDaS10_S11_EUlS10_E_NS1_11comp_targetILNS1_3genE2ELNS1_11target_archE906ELNS1_3gpuE6ELNS1_3repE0EEENS1_30default_config_static_selectorELNS0_4arch9wavefront6targetE1EEEvT1_
; %bb.0:
	.section	.rodata,"a",@progbits
	.p2align	6, 0x0
	.amdhsa_kernel _ZN7rocprim17ROCPRIM_400000_NS6detail17trampoline_kernelINS0_14default_configENS1_27scan_by_key_config_selectorImiEEZZNS1_16scan_by_key_implILNS1_25lookback_scan_determinismE0ELb0ES3_N6thrust23THRUST_200600_302600_NS18transform_iteratorI9row_indexNS9_17counting_iteratorImNS9_11use_defaultESD_SD_EESD_SD_EENS9_6detail15normal_iteratorINS9_10device_ptrIiEEEESK_iNS9_4plusIvEENS9_8equal_toIvEEiEE10hipError_tPvRmT2_T3_T4_T5_mT6_T7_P12ihipStream_tbENKUlT_T0_E_clISt17integral_constantIbLb1EES15_EEDaS10_S11_EUlS10_E_NS1_11comp_targetILNS1_3genE2ELNS1_11target_archE906ELNS1_3gpuE6ELNS1_3repE0EEENS1_30default_config_static_selectorELNS0_4arch9wavefront6targetE1EEEvT1_
		.amdhsa_group_segment_fixed_size 0
		.amdhsa_private_segment_fixed_size 0
		.amdhsa_kernarg_size 120
		.amdhsa_user_sgpr_count 6
		.amdhsa_user_sgpr_private_segment_buffer 1
		.amdhsa_user_sgpr_dispatch_ptr 0
		.amdhsa_user_sgpr_queue_ptr 0
		.amdhsa_user_sgpr_kernarg_segment_ptr 1
		.amdhsa_user_sgpr_dispatch_id 0
		.amdhsa_user_sgpr_flat_scratch_init 0
		.amdhsa_user_sgpr_kernarg_preload_length 0
		.amdhsa_user_sgpr_kernarg_preload_offset 0
		.amdhsa_user_sgpr_private_segment_size 0
		.amdhsa_uses_dynamic_stack 0
		.amdhsa_system_sgpr_private_segment_wavefront_offset 0
		.amdhsa_system_sgpr_workgroup_id_x 1
		.amdhsa_system_sgpr_workgroup_id_y 0
		.amdhsa_system_sgpr_workgroup_id_z 0
		.amdhsa_system_sgpr_workgroup_info 0
		.amdhsa_system_vgpr_workitem_id 0
		.amdhsa_next_free_vgpr 1
		.amdhsa_next_free_sgpr 0
		.amdhsa_accum_offset 4
		.amdhsa_reserve_vcc 0
		.amdhsa_reserve_flat_scratch 0
		.amdhsa_float_round_mode_32 0
		.amdhsa_float_round_mode_16_64 0
		.amdhsa_float_denorm_mode_32 3
		.amdhsa_float_denorm_mode_16_64 3
		.amdhsa_dx10_clamp 1
		.amdhsa_ieee_mode 1
		.amdhsa_fp16_overflow 0
		.amdhsa_tg_split 0
		.amdhsa_exception_fp_ieee_invalid_op 0
		.amdhsa_exception_fp_denorm_src 0
		.amdhsa_exception_fp_ieee_div_zero 0
		.amdhsa_exception_fp_ieee_overflow 0
		.amdhsa_exception_fp_ieee_underflow 0
		.amdhsa_exception_fp_ieee_inexact 0
		.amdhsa_exception_int_div_zero 0
	.end_amdhsa_kernel
	.section	.text._ZN7rocprim17ROCPRIM_400000_NS6detail17trampoline_kernelINS0_14default_configENS1_27scan_by_key_config_selectorImiEEZZNS1_16scan_by_key_implILNS1_25lookback_scan_determinismE0ELb0ES3_N6thrust23THRUST_200600_302600_NS18transform_iteratorI9row_indexNS9_17counting_iteratorImNS9_11use_defaultESD_SD_EESD_SD_EENS9_6detail15normal_iteratorINS9_10device_ptrIiEEEESK_iNS9_4plusIvEENS9_8equal_toIvEEiEE10hipError_tPvRmT2_T3_T4_T5_mT6_T7_P12ihipStream_tbENKUlT_T0_E_clISt17integral_constantIbLb1EES15_EEDaS10_S11_EUlS10_E_NS1_11comp_targetILNS1_3genE2ELNS1_11target_archE906ELNS1_3gpuE6ELNS1_3repE0EEENS1_30default_config_static_selectorELNS0_4arch9wavefront6targetE1EEEvT1_,"axG",@progbits,_ZN7rocprim17ROCPRIM_400000_NS6detail17trampoline_kernelINS0_14default_configENS1_27scan_by_key_config_selectorImiEEZZNS1_16scan_by_key_implILNS1_25lookback_scan_determinismE0ELb0ES3_N6thrust23THRUST_200600_302600_NS18transform_iteratorI9row_indexNS9_17counting_iteratorImNS9_11use_defaultESD_SD_EESD_SD_EENS9_6detail15normal_iteratorINS9_10device_ptrIiEEEESK_iNS9_4plusIvEENS9_8equal_toIvEEiEE10hipError_tPvRmT2_T3_T4_T5_mT6_T7_P12ihipStream_tbENKUlT_T0_E_clISt17integral_constantIbLb1EES15_EEDaS10_S11_EUlS10_E_NS1_11comp_targetILNS1_3genE2ELNS1_11target_archE906ELNS1_3gpuE6ELNS1_3repE0EEENS1_30default_config_static_selectorELNS0_4arch9wavefront6targetE1EEEvT1_,comdat
.Lfunc_end19:
	.size	_ZN7rocprim17ROCPRIM_400000_NS6detail17trampoline_kernelINS0_14default_configENS1_27scan_by_key_config_selectorImiEEZZNS1_16scan_by_key_implILNS1_25lookback_scan_determinismE0ELb0ES3_N6thrust23THRUST_200600_302600_NS18transform_iteratorI9row_indexNS9_17counting_iteratorImNS9_11use_defaultESD_SD_EESD_SD_EENS9_6detail15normal_iteratorINS9_10device_ptrIiEEEESK_iNS9_4plusIvEENS9_8equal_toIvEEiEE10hipError_tPvRmT2_T3_T4_T5_mT6_T7_P12ihipStream_tbENKUlT_T0_E_clISt17integral_constantIbLb1EES15_EEDaS10_S11_EUlS10_E_NS1_11comp_targetILNS1_3genE2ELNS1_11target_archE906ELNS1_3gpuE6ELNS1_3repE0EEENS1_30default_config_static_selectorELNS0_4arch9wavefront6targetE1EEEvT1_, .Lfunc_end19-_ZN7rocprim17ROCPRIM_400000_NS6detail17trampoline_kernelINS0_14default_configENS1_27scan_by_key_config_selectorImiEEZZNS1_16scan_by_key_implILNS1_25lookback_scan_determinismE0ELb0ES3_N6thrust23THRUST_200600_302600_NS18transform_iteratorI9row_indexNS9_17counting_iteratorImNS9_11use_defaultESD_SD_EESD_SD_EENS9_6detail15normal_iteratorINS9_10device_ptrIiEEEESK_iNS9_4plusIvEENS9_8equal_toIvEEiEE10hipError_tPvRmT2_T3_T4_T5_mT6_T7_P12ihipStream_tbENKUlT_T0_E_clISt17integral_constantIbLb1EES15_EEDaS10_S11_EUlS10_E_NS1_11comp_targetILNS1_3genE2ELNS1_11target_archE906ELNS1_3gpuE6ELNS1_3repE0EEENS1_30default_config_static_selectorELNS0_4arch9wavefront6targetE1EEEvT1_
                                        ; -- End function
	.section	.AMDGPU.csdata,"",@progbits
; Kernel info:
; codeLenInByte = 0
; NumSgprs: 4
; NumVgprs: 0
; NumAgprs: 0
; TotalNumVgprs: 0
; ScratchSize: 0
; MemoryBound: 0
; FloatMode: 240
; IeeeMode: 1
; LDSByteSize: 0 bytes/workgroup (compile time only)
; SGPRBlocks: 0
; VGPRBlocks: 0
; NumSGPRsForWavesPerEU: 4
; NumVGPRsForWavesPerEU: 1
; AccumOffset: 4
; Occupancy: 8
; WaveLimiterHint : 0
; COMPUTE_PGM_RSRC2:SCRATCH_EN: 0
; COMPUTE_PGM_RSRC2:USER_SGPR: 6
; COMPUTE_PGM_RSRC2:TRAP_HANDLER: 0
; COMPUTE_PGM_RSRC2:TGID_X_EN: 1
; COMPUTE_PGM_RSRC2:TGID_Y_EN: 0
; COMPUTE_PGM_RSRC2:TGID_Z_EN: 0
; COMPUTE_PGM_RSRC2:TIDIG_COMP_CNT: 0
; COMPUTE_PGM_RSRC3_GFX90A:ACCUM_OFFSET: 0
; COMPUTE_PGM_RSRC3_GFX90A:TG_SPLIT: 0
	.section	.text._ZN7rocprim17ROCPRIM_400000_NS6detail17trampoline_kernelINS0_14default_configENS1_27scan_by_key_config_selectorImiEEZZNS1_16scan_by_key_implILNS1_25lookback_scan_determinismE0ELb0ES3_N6thrust23THRUST_200600_302600_NS18transform_iteratorI9row_indexNS9_17counting_iteratorImNS9_11use_defaultESD_SD_EESD_SD_EENS9_6detail15normal_iteratorINS9_10device_ptrIiEEEESK_iNS9_4plusIvEENS9_8equal_toIvEEiEE10hipError_tPvRmT2_T3_T4_T5_mT6_T7_P12ihipStream_tbENKUlT_T0_E_clISt17integral_constantIbLb1EES15_EEDaS10_S11_EUlS10_E_NS1_11comp_targetILNS1_3genE10ELNS1_11target_archE1200ELNS1_3gpuE4ELNS1_3repE0EEENS1_30default_config_static_selectorELNS0_4arch9wavefront6targetE1EEEvT1_,"axG",@progbits,_ZN7rocprim17ROCPRIM_400000_NS6detail17trampoline_kernelINS0_14default_configENS1_27scan_by_key_config_selectorImiEEZZNS1_16scan_by_key_implILNS1_25lookback_scan_determinismE0ELb0ES3_N6thrust23THRUST_200600_302600_NS18transform_iteratorI9row_indexNS9_17counting_iteratorImNS9_11use_defaultESD_SD_EESD_SD_EENS9_6detail15normal_iteratorINS9_10device_ptrIiEEEESK_iNS9_4plusIvEENS9_8equal_toIvEEiEE10hipError_tPvRmT2_T3_T4_T5_mT6_T7_P12ihipStream_tbENKUlT_T0_E_clISt17integral_constantIbLb1EES15_EEDaS10_S11_EUlS10_E_NS1_11comp_targetILNS1_3genE10ELNS1_11target_archE1200ELNS1_3gpuE4ELNS1_3repE0EEENS1_30default_config_static_selectorELNS0_4arch9wavefront6targetE1EEEvT1_,comdat
	.protected	_ZN7rocprim17ROCPRIM_400000_NS6detail17trampoline_kernelINS0_14default_configENS1_27scan_by_key_config_selectorImiEEZZNS1_16scan_by_key_implILNS1_25lookback_scan_determinismE0ELb0ES3_N6thrust23THRUST_200600_302600_NS18transform_iteratorI9row_indexNS9_17counting_iteratorImNS9_11use_defaultESD_SD_EESD_SD_EENS9_6detail15normal_iteratorINS9_10device_ptrIiEEEESK_iNS9_4plusIvEENS9_8equal_toIvEEiEE10hipError_tPvRmT2_T3_T4_T5_mT6_T7_P12ihipStream_tbENKUlT_T0_E_clISt17integral_constantIbLb1EES15_EEDaS10_S11_EUlS10_E_NS1_11comp_targetILNS1_3genE10ELNS1_11target_archE1200ELNS1_3gpuE4ELNS1_3repE0EEENS1_30default_config_static_selectorELNS0_4arch9wavefront6targetE1EEEvT1_ ; -- Begin function _ZN7rocprim17ROCPRIM_400000_NS6detail17trampoline_kernelINS0_14default_configENS1_27scan_by_key_config_selectorImiEEZZNS1_16scan_by_key_implILNS1_25lookback_scan_determinismE0ELb0ES3_N6thrust23THRUST_200600_302600_NS18transform_iteratorI9row_indexNS9_17counting_iteratorImNS9_11use_defaultESD_SD_EESD_SD_EENS9_6detail15normal_iteratorINS9_10device_ptrIiEEEESK_iNS9_4plusIvEENS9_8equal_toIvEEiEE10hipError_tPvRmT2_T3_T4_T5_mT6_T7_P12ihipStream_tbENKUlT_T0_E_clISt17integral_constantIbLb1EES15_EEDaS10_S11_EUlS10_E_NS1_11comp_targetILNS1_3genE10ELNS1_11target_archE1200ELNS1_3gpuE4ELNS1_3repE0EEENS1_30default_config_static_selectorELNS0_4arch9wavefront6targetE1EEEvT1_
	.globl	_ZN7rocprim17ROCPRIM_400000_NS6detail17trampoline_kernelINS0_14default_configENS1_27scan_by_key_config_selectorImiEEZZNS1_16scan_by_key_implILNS1_25lookback_scan_determinismE0ELb0ES3_N6thrust23THRUST_200600_302600_NS18transform_iteratorI9row_indexNS9_17counting_iteratorImNS9_11use_defaultESD_SD_EESD_SD_EENS9_6detail15normal_iteratorINS9_10device_ptrIiEEEESK_iNS9_4plusIvEENS9_8equal_toIvEEiEE10hipError_tPvRmT2_T3_T4_T5_mT6_T7_P12ihipStream_tbENKUlT_T0_E_clISt17integral_constantIbLb1EES15_EEDaS10_S11_EUlS10_E_NS1_11comp_targetILNS1_3genE10ELNS1_11target_archE1200ELNS1_3gpuE4ELNS1_3repE0EEENS1_30default_config_static_selectorELNS0_4arch9wavefront6targetE1EEEvT1_
	.p2align	8
	.type	_ZN7rocprim17ROCPRIM_400000_NS6detail17trampoline_kernelINS0_14default_configENS1_27scan_by_key_config_selectorImiEEZZNS1_16scan_by_key_implILNS1_25lookback_scan_determinismE0ELb0ES3_N6thrust23THRUST_200600_302600_NS18transform_iteratorI9row_indexNS9_17counting_iteratorImNS9_11use_defaultESD_SD_EESD_SD_EENS9_6detail15normal_iteratorINS9_10device_ptrIiEEEESK_iNS9_4plusIvEENS9_8equal_toIvEEiEE10hipError_tPvRmT2_T3_T4_T5_mT6_T7_P12ihipStream_tbENKUlT_T0_E_clISt17integral_constantIbLb1EES15_EEDaS10_S11_EUlS10_E_NS1_11comp_targetILNS1_3genE10ELNS1_11target_archE1200ELNS1_3gpuE4ELNS1_3repE0EEENS1_30default_config_static_selectorELNS0_4arch9wavefront6targetE1EEEvT1_,@function
_ZN7rocprim17ROCPRIM_400000_NS6detail17trampoline_kernelINS0_14default_configENS1_27scan_by_key_config_selectorImiEEZZNS1_16scan_by_key_implILNS1_25lookback_scan_determinismE0ELb0ES3_N6thrust23THRUST_200600_302600_NS18transform_iteratorI9row_indexNS9_17counting_iteratorImNS9_11use_defaultESD_SD_EESD_SD_EENS9_6detail15normal_iteratorINS9_10device_ptrIiEEEESK_iNS9_4plusIvEENS9_8equal_toIvEEiEE10hipError_tPvRmT2_T3_T4_T5_mT6_T7_P12ihipStream_tbENKUlT_T0_E_clISt17integral_constantIbLb1EES15_EEDaS10_S11_EUlS10_E_NS1_11comp_targetILNS1_3genE10ELNS1_11target_archE1200ELNS1_3gpuE4ELNS1_3repE0EEENS1_30default_config_static_selectorELNS0_4arch9wavefront6targetE1EEEvT1_: ; @_ZN7rocprim17ROCPRIM_400000_NS6detail17trampoline_kernelINS0_14default_configENS1_27scan_by_key_config_selectorImiEEZZNS1_16scan_by_key_implILNS1_25lookback_scan_determinismE0ELb0ES3_N6thrust23THRUST_200600_302600_NS18transform_iteratorI9row_indexNS9_17counting_iteratorImNS9_11use_defaultESD_SD_EESD_SD_EENS9_6detail15normal_iteratorINS9_10device_ptrIiEEEESK_iNS9_4plusIvEENS9_8equal_toIvEEiEE10hipError_tPvRmT2_T3_T4_T5_mT6_T7_P12ihipStream_tbENKUlT_T0_E_clISt17integral_constantIbLb1EES15_EEDaS10_S11_EUlS10_E_NS1_11comp_targetILNS1_3genE10ELNS1_11target_archE1200ELNS1_3gpuE4ELNS1_3repE0EEENS1_30default_config_static_selectorELNS0_4arch9wavefront6targetE1EEEvT1_
; %bb.0:
	.section	.rodata,"a",@progbits
	.p2align	6, 0x0
	.amdhsa_kernel _ZN7rocprim17ROCPRIM_400000_NS6detail17trampoline_kernelINS0_14default_configENS1_27scan_by_key_config_selectorImiEEZZNS1_16scan_by_key_implILNS1_25lookback_scan_determinismE0ELb0ES3_N6thrust23THRUST_200600_302600_NS18transform_iteratorI9row_indexNS9_17counting_iteratorImNS9_11use_defaultESD_SD_EESD_SD_EENS9_6detail15normal_iteratorINS9_10device_ptrIiEEEESK_iNS9_4plusIvEENS9_8equal_toIvEEiEE10hipError_tPvRmT2_T3_T4_T5_mT6_T7_P12ihipStream_tbENKUlT_T0_E_clISt17integral_constantIbLb1EES15_EEDaS10_S11_EUlS10_E_NS1_11comp_targetILNS1_3genE10ELNS1_11target_archE1200ELNS1_3gpuE4ELNS1_3repE0EEENS1_30default_config_static_selectorELNS0_4arch9wavefront6targetE1EEEvT1_
		.amdhsa_group_segment_fixed_size 0
		.amdhsa_private_segment_fixed_size 0
		.amdhsa_kernarg_size 120
		.amdhsa_user_sgpr_count 6
		.amdhsa_user_sgpr_private_segment_buffer 1
		.amdhsa_user_sgpr_dispatch_ptr 0
		.amdhsa_user_sgpr_queue_ptr 0
		.amdhsa_user_sgpr_kernarg_segment_ptr 1
		.amdhsa_user_sgpr_dispatch_id 0
		.amdhsa_user_sgpr_flat_scratch_init 0
		.amdhsa_user_sgpr_kernarg_preload_length 0
		.amdhsa_user_sgpr_kernarg_preload_offset 0
		.amdhsa_user_sgpr_private_segment_size 0
		.amdhsa_uses_dynamic_stack 0
		.amdhsa_system_sgpr_private_segment_wavefront_offset 0
		.amdhsa_system_sgpr_workgroup_id_x 1
		.amdhsa_system_sgpr_workgroup_id_y 0
		.amdhsa_system_sgpr_workgroup_id_z 0
		.amdhsa_system_sgpr_workgroup_info 0
		.amdhsa_system_vgpr_workitem_id 0
		.amdhsa_next_free_vgpr 1
		.amdhsa_next_free_sgpr 0
		.amdhsa_accum_offset 4
		.amdhsa_reserve_vcc 0
		.amdhsa_reserve_flat_scratch 0
		.amdhsa_float_round_mode_32 0
		.amdhsa_float_round_mode_16_64 0
		.amdhsa_float_denorm_mode_32 3
		.amdhsa_float_denorm_mode_16_64 3
		.amdhsa_dx10_clamp 1
		.amdhsa_ieee_mode 1
		.amdhsa_fp16_overflow 0
		.amdhsa_tg_split 0
		.amdhsa_exception_fp_ieee_invalid_op 0
		.amdhsa_exception_fp_denorm_src 0
		.amdhsa_exception_fp_ieee_div_zero 0
		.amdhsa_exception_fp_ieee_overflow 0
		.amdhsa_exception_fp_ieee_underflow 0
		.amdhsa_exception_fp_ieee_inexact 0
		.amdhsa_exception_int_div_zero 0
	.end_amdhsa_kernel
	.section	.text._ZN7rocprim17ROCPRIM_400000_NS6detail17trampoline_kernelINS0_14default_configENS1_27scan_by_key_config_selectorImiEEZZNS1_16scan_by_key_implILNS1_25lookback_scan_determinismE0ELb0ES3_N6thrust23THRUST_200600_302600_NS18transform_iteratorI9row_indexNS9_17counting_iteratorImNS9_11use_defaultESD_SD_EESD_SD_EENS9_6detail15normal_iteratorINS9_10device_ptrIiEEEESK_iNS9_4plusIvEENS9_8equal_toIvEEiEE10hipError_tPvRmT2_T3_T4_T5_mT6_T7_P12ihipStream_tbENKUlT_T0_E_clISt17integral_constantIbLb1EES15_EEDaS10_S11_EUlS10_E_NS1_11comp_targetILNS1_3genE10ELNS1_11target_archE1200ELNS1_3gpuE4ELNS1_3repE0EEENS1_30default_config_static_selectorELNS0_4arch9wavefront6targetE1EEEvT1_,"axG",@progbits,_ZN7rocprim17ROCPRIM_400000_NS6detail17trampoline_kernelINS0_14default_configENS1_27scan_by_key_config_selectorImiEEZZNS1_16scan_by_key_implILNS1_25lookback_scan_determinismE0ELb0ES3_N6thrust23THRUST_200600_302600_NS18transform_iteratorI9row_indexNS9_17counting_iteratorImNS9_11use_defaultESD_SD_EESD_SD_EENS9_6detail15normal_iteratorINS9_10device_ptrIiEEEESK_iNS9_4plusIvEENS9_8equal_toIvEEiEE10hipError_tPvRmT2_T3_T4_T5_mT6_T7_P12ihipStream_tbENKUlT_T0_E_clISt17integral_constantIbLb1EES15_EEDaS10_S11_EUlS10_E_NS1_11comp_targetILNS1_3genE10ELNS1_11target_archE1200ELNS1_3gpuE4ELNS1_3repE0EEENS1_30default_config_static_selectorELNS0_4arch9wavefront6targetE1EEEvT1_,comdat
.Lfunc_end20:
	.size	_ZN7rocprim17ROCPRIM_400000_NS6detail17trampoline_kernelINS0_14default_configENS1_27scan_by_key_config_selectorImiEEZZNS1_16scan_by_key_implILNS1_25lookback_scan_determinismE0ELb0ES3_N6thrust23THRUST_200600_302600_NS18transform_iteratorI9row_indexNS9_17counting_iteratorImNS9_11use_defaultESD_SD_EESD_SD_EENS9_6detail15normal_iteratorINS9_10device_ptrIiEEEESK_iNS9_4plusIvEENS9_8equal_toIvEEiEE10hipError_tPvRmT2_T3_T4_T5_mT6_T7_P12ihipStream_tbENKUlT_T0_E_clISt17integral_constantIbLb1EES15_EEDaS10_S11_EUlS10_E_NS1_11comp_targetILNS1_3genE10ELNS1_11target_archE1200ELNS1_3gpuE4ELNS1_3repE0EEENS1_30default_config_static_selectorELNS0_4arch9wavefront6targetE1EEEvT1_, .Lfunc_end20-_ZN7rocprim17ROCPRIM_400000_NS6detail17trampoline_kernelINS0_14default_configENS1_27scan_by_key_config_selectorImiEEZZNS1_16scan_by_key_implILNS1_25lookback_scan_determinismE0ELb0ES3_N6thrust23THRUST_200600_302600_NS18transform_iteratorI9row_indexNS9_17counting_iteratorImNS9_11use_defaultESD_SD_EESD_SD_EENS9_6detail15normal_iteratorINS9_10device_ptrIiEEEESK_iNS9_4plusIvEENS9_8equal_toIvEEiEE10hipError_tPvRmT2_T3_T4_T5_mT6_T7_P12ihipStream_tbENKUlT_T0_E_clISt17integral_constantIbLb1EES15_EEDaS10_S11_EUlS10_E_NS1_11comp_targetILNS1_3genE10ELNS1_11target_archE1200ELNS1_3gpuE4ELNS1_3repE0EEENS1_30default_config_static_selectorELNS0_4arch9wavefront6targetE1EEEvT1_
                                        ; -- End function
	.section	.AMDGPU.csdata,"",@progbits
; Kernel info:
; codeLenInByte = 0
; NumSgprs: 4
; NumVgprs: 0
; NumAgprs: 0
; TotalNumVgprs: 0
; ScratchSize: 0
; MemoryBound: 0
; FloatMode: 240
; IeeeMode: 1
; LDSByteSize: 0 bytes/workgroup (compile time only)
; SGPRBlocks: 0
; VGPRBlocks: 0
; NumSGPRsForWavesPerEU: 4
; NumVGPRsForWavesPerEU: 1
; AccumOffset: 4
; Occupancy: 8
; WaveLimiterHint : 0
; COMPUTE_PGM_RSRC2:SCRATCH_EN: 0
; COMPUTE_PGM_RSRC2:USER_SGPR: 6
; COMPUTE_PGM_RSRC2:TRAP_HANDLER: 0
; COMPUTE_PGM_RSRC2:TGID_X_EN: 1
; COMPUTE_PGM_RSRC2:TGID_Y_EN: 0
; COMPUTE_PGM_RSRC2:TGID_Z_EN: 0
; COMPUTE_PGM_RSRC2:TIDIG_COMP_CNT: 0
; COMPUTE_PGM_RSRC3_GFX90A:ACCUM_OFFSET: 0
; COMPUTE_PGM_RSRC3_GFX90A:TG_SPLIT: 0
	.section	.text._ZN7rocprim17ROCPRIM_400000_NS6detail17trampoline_kernelINS0_14default_configENS1_27scan_by_key_config_selectorImiEEZZNS1_16scan_by_key_implILNS1_25lookback_scan_determinismE0ELb0ES3_N6thrust23THRUST_200600_302600_NS18transform_iteratorI9row_indexNS9_17counting_iteratorImNS9_11use_defaultESD_SD_EESD_SD_EENS9_6detail15normal_iteratorINS9_10device_ptrIiEEEESK_iNS9_4plusIvEENS9_8equal_toIvEEiEE10hipError_tPvRmT2_T3_T4_T5_mT6_T7_P12ihipStream_tbENKUlT_T0_E_clISt17integral_constantIbLb1EES15_EEDaS10_S11_EUlS10_E_NS1_11comp_targetILNS1_3genE9ELNS1_11target_archE1100ELNS1_3gpuE3ELNS1_3repE0EEENS1_30default_config_static_selectorELNS0_4arch9wavefront6targetE1EEEvT1_,"axG",@progbits,_ZN7rocprim17ROCPRIM_400000_NS6detail17trampoline_kernelINS0_14default_configENS1_27scan_by_key_config_selectorImiEEZZNS1_16scan_by_key_implILNS1_25lookback_scan_determinismE0ELb0ES3_N6thrust23THRUST_200600_302600_NS18transform_iteratorI9row_indexNS9_17counting_iteratorImNS9_11use_defaultESD_SD_EESD_SD_EENS9_6detail15normal_iteratorINS9_10device_ptrIiEEEESK_iNS9_4plusIvEENS9_8equal_toIvEEiEE10hipError_tPvRmT2_T3_T4_T5_mT6_T7_P12ihipStream_tbENKUlT_T0_E_clISt17integral_constantIbLb1EES15_EEDaS10_S11_EUlS10_E_NS1_11comp_targetILNS1_3genE9ELNS1_11target_archE1100ELNS1_3gpuE3ELNS1_3repE0EEENS1_30default_config_static_selectorELNS0_4arch9wavefront6targetE1EEEvT1_,comdat
	.protected	_ZN7rocprim17ROCPRIM_400000_NS6detail17trampoline_kernelINS0_14default_configENS1_27scan_by_key_config_selectorImiEEZZNS1_16scan_by_key_implILNS1_25lookback_scan_determinismE0ELb0ES3_N6thrust23THRUST_200600_302600_NS18transform_iteratorI9row_indexNS9_17counting_iteratorImNS9_11use_defaultESD_SD_EESD_SD_EENS9_6detail15normal_iteratorINS9_10device_ptrIiEEEESK_iNS9_4plusIvEENS9_8equal_toIvEEiEE10hipError_tPvRmT2_T3_T4_T5_mT6_T7_P12ihipStream_tbENKUlT_T0_E_clISt17integral_constantIbLb1EES15_EEDaS10_S11_EUlS10_E_NS1_11comp_targetILNS1_3genE9ELNS1_11target_archE1100ELNS1_3gpuE3ELNS1_3repE0EEENS1_30default_config_static_selectorELNS0_4arch9wavefront6targetE1EEEvT1_ ; -- Begin function _ZN7rocprim17ROCPRIM_400000_NS6detail17trampoline_kernelINS0_14default_configENS1_27scan_by_key_config_selectorImiEEZZNS1_16scan_by_key_implILNS1_25lookback_scan_determinismE0ELb0ES3_N6thrust23THRUST_200600_302600_NS18transform_iteratorI9row_indexNS9_17counting_iteratorImNS9_11use_defaultESD_SD_EESD_SD_EENS9_6detail15normal_iteratorINS9_10device_ptrIiEEEESK_iNS9_4plusIvEENS9_8equal_toIvEEiEE10hipError_tPvRmT2_T3_T4_T5_mT6_T7_P12ihipStream_tbENKUlT_T0_E_clISt17integral_constantIbLb1EES15_EEDaS10_S11_EUlS10_E_NS1_11comp_targetILNS1_3genE9ELNS1_11target_archE1100ELNS1_3gpuE3ELNS1_3repE0EEENS1_30default_config_static_selectorELNS0_4arch9wavefront6targetE1EEEvT1_
	.globl	_ZN7rocprim17ROCPRIM_400000_NS6detail17trampoline_kernelINS0_14default_configENS1_27scan_by_key_config_selectorImiEEZZNS1_16scan_by_key_implILNS1_25lookback_scan_determinismE0ELb0ES3_N6thrust23THRUST_200600_302600_NS18transform_iteratorI9row_indexNS9_17counting_iteratorImNS9_11use_defaultESD_SD_EESD_SD_EENS9_6detail15normal_iteratorINS9_10device_ptrIiEEEESK_iNS9_4plusIvEENS9_8equal_toIvEEiEE10hipError_tPvRmT2_T3_T4_T5_mT6_T7_P12ihipStream_tbENKUlT_T0_E_clISt17integral_constantIbLb1EES15_EEDaS10_S11_EUlS10_E_NS1_11comp_targetILNS1_3genE9ELNS1_11target_archE1100ELNS1_3gpuE3ELNS1_3repE0EEENS1_30default_config_static_selectorELNS0_4arch9wavefront6targetE1EEEvT1_
	.p2align	8
	.type	_ZN7rocprim17ROCPRIM_400000_NS6detail17trampoline_kernelINS0_14default_configENS1_27scan_by_key_config_selectorImiEEZZNS1_16scan_by_key_implILNS1_25lookback_scan_determinismE0ELb0ES3_N6thrust23THRUST_200600_302600_NS18transform_iteratorI9row_indexNS9_17counting_iteratorImNS9_11use_defaultESD_SD_EESD_SD_EENS9_6detail15normal_iteratorINS9_10device_ptrIiEEEESK_iNS9_4plusIvEENS9_8equal_toIvEEiEE10hipError_tPvRmT2_T3_T4_T5_mT6_T7_P12ihipStream_tbENKUlT_T0_E_clISt17integral_constantIbLb1EES15_EEDaS10_S11_EUlS10_E_NS1_11comp_targetILNS1_3genE9ELNS1_11target_archE1100ELNS1_3gpuE3ELNS1_3repE0EEENS1_30default_config_static_selectorELNS0_4arch9wavefront6targetE1EEEvT1_,@function
_ZN7rocprim17ROCPRIM_400000_NS6detail17trampoline_kernelINS0_14default_configENS1_27scan_by_key_config_selectorImiEEZZNS1_16scan_by_key_implILNS1_25lookback_scan_determinismE0ELb0ES3_N6thrust23THRUST_200600_302600_NS18transform_iteratorI9row_indexNS9_17counting_iteratorImNS9_11use_defaultESD_SD_EESD_SD_EENS9_6detail15normal_iteratorINS9_10device_ptrIiEEEESK_iNS9_4plusIvEENS9_8equal_toIvEEiEE10hipError_tPvRmT2_T3_T4_T5_mT6_T7_P12ihipStream_tbENKUlT_T0_E_clISt17integral_constantIbLb1EES15_EEDaS10_S11_EUlS10_E_NS1_11comp_targetILNS1_3genE9ELNS1_11target_archE1100ELNS1_3gpuE3ELNS1_3repE0EEENS1_30default_config_static_selectorELNS0_4arch9wavefront6targetE1EEEvT1_: ; @_ZN7rocprim17ROCPRIM_400000_NS6detail17trampoline_kernelINS0_14default_configENS1_27scan_by_key_config_selectorImiEEZZNS1_16scan_by_key_implILNS1_25lookback_scan_determinismE0ELb0ES3_N6thrust23THRUST_200600_302600_NS18transform_iteratorI9row_indexNS9_17counting_iteratorImNS9_11use_defaultESD_SD_EESD_SD_EENS9_6detail15normal_iteratorINS9_10device_ptrIiEEEESK_iNS9_4plusIvEENS9_8equal_toIvEEiEE10hipError_tPvRmT2_T3_T4_T5_mT6_T7_P12ihipStream_tbENKUlT_T0_E_clISt17integral_constantIbLb1EES15_EEDaS10_S11_EUlS10_E_NS1_11comp_targetILNS1_3genE9ELNS1_11target_archE1100ELNS1_3gpuE3ELNS1_3repE0EEENS1_30default_config_static_selectorELNS0_4arch9wavefront6targetE1EEEvT1_
; %bb.0:
	.section	.rodata,"a",@progbits
	.p2align	6, 0x0
	.amdhsa_kernel _ZN7rocprim17ROCPRIM_400000_NS6detail17trampoline_kernelINS0_14default_configENS1_27scan_by_key_config_selectorImiEEZZNS1_16scan_by_key_implILNS1_25lookback_scan_determinismE0ELb0ES3_N6thrust23THRUST_200600_302600_NS18transform_iteratorI9row_indexNS9_17counting_iteratorImNS9_11use_defaultESD_SD_EESD_SD_EENS9_6detail15normal_iteratorINS9_10device_ptrIiEEEESK_iNS9_4plusIvEENS9_8equal_toIvEEiEE10hipError_tPvRmT2_T3_T4_T5_mT6_T7_P12ihipStream_tbENKUlT_T0_E_clISt17integral_constantIbLb1EES15_EEDaS10_S11_EUlS10_E_NS1_11comp_targetILNS1_3genE9ELNS1_11target_archE1100ELNS1_3gpuE3ELNS1_3repE0EEENS1_30default_config_static_selectorELNS0_4arch9wavefront6targetE1EEEvT1_
		.amdhsa_group_segment_fixed_size 0
		.amdhsa_private_segment_fixed_size 0
		.amdhsa_kernarg_size 120
		.amdhsa_user_sgpr_count 6
		.amdhsa_user_sgpr_private_segment_buffer 1
		.amdhsa_user_sgpr_dispatch_ptr 0
		.amdhsa_user_sgpr_queue_ptr 0
		.amdhsa_user_sgpr_kernarg_segment_ptr 1
		.amdhsa_user_sgpr_dispatch_id 0
		.amdhsa_user_sgpr_flat_scratch_init 0
		.amdhsa_user_sgpr_kernarg_preload_length 0
		.amdhsa_user_sgpr_kernarg_preload_offset 0
		.amdhsa_user_sgpr_private_segment_size 0
		.amdhsa_uses_dynamic_stack 0
		.amdhsa_system_sgpr_private_segment_wavefront_offset 0
		.amdhsa_system_sgpr_workgroup_id_x 1
		.amdhsa_system_sgpr_workgroup_id_y 0
		.amdhsa_system_sgpr_workgroup_id_z 0
		.amdhsa_system_sgpr_workgroup_info 0
		.amdhsa_system_vgpr_workitem_id 0
		.amdhsa_next_free_vgpr 1
		.amdhsa_next_free_sgpr 0
		.amdhsa_accum_offset 4
		.amdhsa_reserve_vcc 0
		.amdhsa_reserve_flat_scratch 0
		.amdhsa_float_round_mode_32 0
		.amdhsa_float_round_mode_16_64 0
		.amdhsa_float_denorm_mode_32 3
		.amdhsa_float_denorm_mode_16_64 3
		.amdhsa_dx10_clamp 1
		.amdhsa_ieee_mode 1
		.amdhsa_fp16_overflow 0
		.amdhsa_tg_split 0
		.amdhsa_exception_fp_ieee_invalid_op 0
		.amdhsa_exception_fp_denorm_src 0
		.amdhsa_exception_fp_ieee_div_zero 0
		.amdhsa_exception_fp_ieee_overflow 0
		.amdhsa_exception_fp_ieee_underflow 0
		.amdhsa_exception_fp_ieee_inexact 0
		.amdhsa_exception_int_div_zero 0
	.end_amdhsa_kernel
	.section	.text._ZN7rocprim17ROCPRIM_400000_NS6detail17trampoline_kernelINS0_14default_configENS1_27scan_by_key_config_selectorImiEEZZNS1_16scan_by_key_implILNS1_25lookback_scan_determinismE0ELb0ES3_N6thrust23THRUST_200600_302600_NS18transform_iteratorI9row_indexNS9_17counting_iteratorImNS9_11use_defaultESD_SD_EESD_SD_EENS9_6detail15normal_iteratorINS9_10device_ptrIiEEEESK_iNS9_4plusIvEENS9_8equal_toIvEEiEE10hipError_tPvRmT2_T3_T4_T5_mT6_T7_P12ihipStream_tbENKUlT_T0_E_clISt17integral_constantIbLb1EES15_EEDaS10_S11_EUlS10_E_NS1_11comp_targetILNS1_3genE9ELNS1_11target_archE1100ELNS1_3gpuE3ELNS1_3repE0EEENS1_30default_config_static_selectorELNS0_4arch9wavefront6targetE1EEEvT1_,"axG",@progbits,_ZN7rocprim17ROCPRIM_400000_NS6detail17trampoline_kernelINS0_14default_configENS1_27scan_by_key_config_selectorImiEEZZNS1_16scan_by_key_implILNS1_25lookback_scan_determinismE0ELb0ES3_N6thrust23THRUST_200600_302600_NS18transform_iteratorI9row_indexNS9_17counting_iteratorImNS9_11use_defaultESD_SD_EESD_SD_EENS9_6detail15normal_iteratorINS9_10device_ptrIiEEEESK_iNS9_4plusIvEENS9_8equal_toIvEEiEE10hipError_tPvRmT2_T3_T4_T5_mT6_T7_P12ihipStream_tbENKUlT_T0_E_clISt17integral_constantIbLb1EES15_EEDaS10_S11_EUlS10_E_NS1_11comp_targetILNS1_3genE9ELNS1_11target_archE1100ELNS1_3gpuE3ELNS1_3repE0EEENS1_30default_config_static_selectorELNS0_4arch9wavefront6targetE1EEEvT1_,comdat
.Lfunc_end21:
	.size	_ZN7rocprim17ROCPRIM_400000_NS6detail17trampoline_kernelINS0_14default_configENS1_27scan_by_key_config_selectorImiEEZZNS1_16scan_by_key_implILNS1_25lookback_scan_determinismE0ELb0ES3_N6thrust23THRUST_200600_302600_NS18transform_iteratorI9row_indexNS9_17counting_iteratorImNS9_11use_defaultESD_SD_EESD_SD_EENS9_6detail15normal_iteratorINS9_10device_ptrIiEEEESK_iNS9_4plusIvEENS9_8equal_toIvEEiEE10hipError_tPvRmT2_T3_T4_T5_mT6_T7_P12ihipStream_tbENKUlT_T0_E_clISt17integral_constantIbLb1EES15_EEDaS10_S11_EUlS10_E_NS1_11comp_targetILNS1_3genE9ELNS1_11target_archE1100ELNS1_3gpuE3ELNS1_3repE0EEENS1_30default_config_static_selectorELNS0_4arch9wavefront6targetE1EEEvT1_, .Lfunc_end21-_ZN7rocprim17ROCPRIM_400000_NS6detail17trampoline_kernelINS0_14default_configENS1_27scan_by_key_config_selectorImiEEZZNS1_16scan_by_key_implILNS1_25lookback_scan_determinismE0ELb0ES3_N6thrust23THRUST_200600_302600_NS18transform_iteratorI9row_indexNS9_17counting_iteratorImNS9_11use_defaultESD_SD_EESD_SD_EENS9_6detail15normal_iteratorINS9_10device_ptrIiEEEESK_iNS9_4plusIvEENS9_8equal_toIvEEiEE10hipError_tPvRmT2_T3_T4_T5_mT6_T7_P12ihipStream_tbENKUlT_T0_E_clISt17integral_constantIbLb1EES15_EEDaS10_S11_EUlS10_E_NS1_11comp_targetILNS1_3genE9ELNS1_11target_archE1100ELNS1_3gpuE3ELNS1_3repE0EEENS1_30default_config_static_selectorELNS0_4arch9wavefront6targetE1EEEvT1_
                                        ; -- End function
	.section	.AMDGPU.csdata,"",@progbits
; Kernel info:
; codeLenInByte = 0
; NumSgprs: 4
; NumVgprs: 0
; NumAgprs: 0
; TotalNumVgprs: 0
; ScratchSize: 0
; MemoryBound: 0
; FloatMode: 240
; IeeeMode: 1
; LDSByteSize: 0 bytes/workgroup (compile time only)
; SGPRBlocks: 0
; VGPRBlocks: 0
; NumSGPRsForWavesPerEU: 4
; NumVGPRsForWavesPerEU: 1
; AccumOffset: 4
; Occupancy: 8
; WaveLimiterHint : 0
; COMPUTE_PGM_RSRC2:SCRATCH_EN: 0
; COMPUTE_PGM_RSRC2:USER_SGPR: 6
; COMPUTE_PGM_RSRC2:TRAP_HANDLER: 0
; COMPUTE_PGM_RSRC2:TGID_X_EN: 1
; COMPUTE_PGM_RSRC2:TGID_Y_EN: 0
; COMPUTE_PGM_RSRC2:TGID_Z_EN: 0
; COMPUTE_PGM_RSRC2:TIDIG_COMP_CNT: 0
; COMPUTE_PGM_RSRC3_GFX90A:ACCUM_OFFSET: 0
; COMPUTE_PGM_RSRC3_GFX90A:TG_SPLIT: 0
	.section	.text._ZN7rocprim17ROCPRIM_400000_NS6detail17trampoline_kernelINS0_14default_configENS1_27scan_by_key_config_selectorImiEEZZNS1_16scan_by_key_implILNS1_25lookback_scan_determinismE0ELb0ES3_N6thrust23THRUST_200600_302600_NS18transform_iteratorI9row_indexNS9_17counting_iteratorImNS9_11use_defaultESD_SD_EESD_SD_EENS9_6detail15normal_iteratorINS9_10device_ptrIiEEEESK_iNS9_4plusIvEENS9_8equal_toIvEEiEE10hipError_tPvRmT2_T3_T4_T5_mT6_T7_P12ihipStream_tbENKUlT_T0_E_clISt17integral_constantIbLb1EES15_EEDaS10_S11_EUlS10_E_NS1_11comp_targetILNS1_3genE8ELNS1_11target_archE1030ELNS1_3gpuE2ELNS1_3repE0EEENS1_30default_config_static_selectorELNS0_4arch9wavefront6targetE1EEEvT1_,"axG",@progbits,_ZN7rocprim17ROCPRIM_400000_NS6detail17trampoline_kernelINS0_14default_configENS1_27scan_by_key_config_selectorImiEEZZNS1_16scan_by_key_implILNS1_25lookback_scan_determinismE0ELb0ES3_N6thrust23THRUST_200600_302600_NS18transform_iteratorI9row_indexNS9_17counting_iteratorImNS9_11use_defaultESD_SD_EESD_SD_EENS9_6detail15normal_iteratorINS9_10device_ptrIiEEEESK_iNS9_4plusIvEENS9_8equal_toIvEEiEE10hipError_tPvRmT2_T3_T4_T5_mT6_T7_P12ihipStream_tbENKUlT_T0_E_clISt17integral_constantIbLb1EES15_EEDaS10_S11_EUlS10_E_NS1_11comp_targetILNS1_3genE8ELNS1_11target_archE1030ELNS1_3gpuE2ELNS1_3repE0EEENS1_30default_config_static_selectorELNS0_4arch9wavefront6targetE1EEEvT1_,comdat
	.protected	_ZN7rocprim17ROCPRIM_400000_NS6detail17trampoline_kernelINS0_14default_configENS1_27scan_by_key_config_selectorImiEEZZNS1_16scan_by_key_implILNS1_25lookback_scan_determinismE0ELb0ES3_N6thrust23THRUST_200600_302600_NS18transform_iteratorI9row_indexNS9_17counting_iteratorImNS9_11use_defaultESD_SD_EESD_SD_EENS9_6detail15normal_iteratorINS9_10device_ptrIiEEEESK_iNS9_4plusIvEENS9_8equal_toIvEEiEE10hipError_tPvRmT2_T3_T4_T5_mT6_T7_P12ihipStream_tbENKUlT_T0_E_clISt17integral_constantIbLb1EES15_EEDaS10_S11_EUlS10_E_NS1_11comp_targetILNS1_3genE8ELNS1_11target_archE1030ELNS1_3gpuE2ELNS1_3repE0EEENS1_30default_config_static_selectorELNS0_4arch9wavefront6targetE1EEEvT1_ ; -- Begin function _ZN7rocprim17ROCPRIM_400000_NS6detail17trampoline_kernelINS0_14default_configENS1_27scan_by_key_config_selectorImiEEZZNS1_16scan_by_key_implILNS1_25lookback_scan_determinismE0ELb0ES3_N6thrust23THRUST_200600_302600_NS18transform_iteratorI9row_indexNS9_17counting_iteratorImNS9_11use_defaultESD_SD_EESD_SD_EENS9_6detail15normal_iteratorINS9_10device_ptrIiEEEESK_iNS9_4plusIvEENS9_8equal_toIvEEiEE10hipError_tPvRmT2_T3_T4_T5_mT6_T7_P12ihipStream_tbENKUlT_T0_E_clISt17integral_constantIbLb1EES15_EEDaS10_S11_EUlS10_E_NS1_11comp_targetILNS1_3genE8ELNS1_11target_archE1030ELNS1_3gpuE2ELNS1_3repE0EEENS1_30default_config_static_selectorELNS0_4arch9wavefront6targetE1EEEvT1_
	.globl	_ZN7rocprim17ROCPRIM_400000_NS6detail17trampoline_kernelINS0_14default_configENS1_27scan_by_key_config_selectorImiEEZZNS1_16scan_by_key_implILNS1_25lookback_scan_determinismE0ELb0ES3_N6thrust23THRUST_200600_302600_NS18transform_iteratorI9row_indexNS9_17counting_iteratorImNS9_11use_defaultESD_SD_EESD_SD_EENS9_6detail15normal_iteratorINS9_10device_ptrIiEEEESK_iNS9_4plusIvEENS9_8equal_toIvEEiEE10hipError_tPvRmT2_T3_T4_T5_mT6_T7_P12ihipStream_tbENKUlT_T0_E_clISt17integral_constantIbLb1EES15_EEDaS10_S11_EUlS10_E_NS1_11comp_targetILNS1_3genE8ELNS1_11target_archE1030ELNS1_3gpuE2ELNS1_3repE0EEENS1_30default_config_static_selectorELNS0_4arch9wavefront6targetE1EEEvT1_
	.p2align	8
	.type	_ZN7rocprim17ROCPRIM_400000_NS6detail17trampoline_kernelINS0_14default_configENS1_27scan_by_key_config_selectorImiEEZZNS1_16scan_by_key_implILNS1_25lookback_scan_determinismE0ELb0ES3_N6thrust23THRUST_200600_302600_NS18transform_iteratorI9row_indexNS9_17counting_iteratorImNS9_11use_defaultESD_SD_EESD_SD_EENS9_6detail15normal_iteratorINS9_10device_ptrIiEEEESK_iNS9_4plusIvEENS9_8equal_toIvEEiEE10hipError_tPvRmT2_T3_T4_T5_mT6_T7_P12ihipStream_tbENKUlT_T0_E_clISt17integral_constantIbLb1EES15_EEDaS10_S11_EUlS10_E_NS1_11comp_targetILNS1_3genE8ELNS1_11target_archE1030ELNS1_3gpuE2ELNS1_3repE0EEENS1_30default_config_static_selectorELNS0_4arch9wavefront6targetE1EEEvT1_,@function
_ZN7rocprim17ROCPRIM_400000_NS6detail17trampoline_kernelINS0_14default_configENS1_27scan_by_key_config_selectorImiEEZZNS1_16scan_by_key_implILNS1_25lookback_scan_determinismE0ELb0ES3_N6thrust23THRUST_200600_302600_NS18transform_iteratorI9row_indexNS9_17counting_iteratorImNS9_11use_defaultESD_SD_EESD_SD_EENS9_6detail15normal_iteratorINS9_10device_ptrIiEEEESK_iNS9_4plusIvEENS9_8equal_toIvEEiEE10hipError_tPvRmT2_T3_T4_T5_mT6_T7_P12ihipStream_tbENKUlT_T0_E_clISt17integral_constantIbLb1EES15_EEDaS10_S11_EUlS10_E_NS1_11comp_targetILNS1_3genE8ELNS1_11target_archE1030ELNS1_3gpuE2ELNS1_3repE0EEENS1_30default_config_static_selectorELNS0_4arch9wavefront6targetE1EEEvT1_: ; @_ZN7rocprim17ROCPRIM_400000_NS6detail17trampoline_kernelINS0_14default_configENS1_27scan_by_key_config_selectorImiEEZZNS1_16scan_by_key_implILNS1_25lookback_scan_determinismE0ELb0ES3_N6thrust23THRUST_200600_302600_NS18transform_iteratorI9row_indexNS9_17counting_iteratorImNS9_11use_defaultESD_SD_EESD_SD_EENS9_6detail15normal_iteratorINS9_10device_ptrIiEEEESK_iNS9_4plusIvEENS9_8equal_toIvEEiEE10hipError_tPvRmT2_T3_T4_T5_mT6_T7_P12ihipStream_tbENKUlT_T0_E_clISt17integral_constantIbLb1EES15_EEDaS10_S11_EUlS10_E_NS1_11comp_targetILNS1_3genE8ELNS1_11target_archE1030ELNS1_3gpuE2ELNS1_3repE0EEENS1_30default_config_static_selectorELNS0_4arch9wavefront6targetE1EEEvT1_
; %bb.0:
	.section	.rodata,"a",@progbits
	.p2align	6, 0x0
	.amdhsa_kernel _ZN7rocprim17ROCPRIM_400000_NS6detail17trampoline_kernelINS0_14default_configENS1_27scan_by_key_config_selectorImiEEZZNS1_16scan_by_key_implILNS1_25lookback_scan_determinismE0ELb0ES3_N6thrust23THRUST_200600_302600_NS18transform_iteratorI9row_indexNS9_17counting_iteratorImNS9_11use_defaultESD_SD_EESD_SD_EENS9_6detail15normal_iteratorINS9_10device_ptrIiEEEESK_iNS9_4plusIvEENS9_8equal_toIvEEiEE10hipError_tPvRmT2_T3_T4_T5_mT6_T7_P12ihipStream_tbENKUlT_T0_E_clISt17integral_constantIbLb1EES15_EEDaS10_S11_EUlS10_E_NS1_11comp_targetILNS1_3genE8ELNS1_11target_archE1030ELNS1_3gpuE2ELNS1_3repE0EEENS1_30default_config_static_selectorELNS0_4arch9wavefront6targetE1EEEvT1_
		.amdhsa_group_segment_fixed_size 0
		.amdhsa_private_segment_fixed_size 0
		.amdhsa_kernarg_size 120
		.amdhsa_user_sgpr_count 6
		.amdhsa_user_sgpr_private_segment_buffer 1
		.amdhsa_user_sgpr_dispatch_ptr 0
		.amdhsa_user_sgpr_queue_ptr 0
		.amdhsa_user_sgpr_kernarg_segment_ptr 1
		.amdhsa_user_sgpr_dispatch_id 0
		.amdhsa_user_sgpr_flat_scratch_init 0
		.amdhsa_user_sgpr_kernarg_preload_length 0
		.amdhsa_user_sgpr_kernarg_preload_offset 0
		.amdhsa_user_sgpr_private_segment_size 0
		.amdhsa_uses_dynamic_stack 0
		.amdhsa_system_sgpr_private_segment_wavefront_offset 0
		.amdhsa_system_sgpr_workgroup_id_x 1
		.amdhsa_system_sgpr_workgroup_id_y 0
		.amdhsa_system_sgpr_workgroup_id_z 0
		.amdhsa_system_sgpr_workgroup_info 0
		.amdhsa_system_vgpr_workitem_id 0
		.amdhsa_next_free_vgpr 1
		.amdhsa_next_free_sgpr 0
		.amdhsa_accum_offset 4
		.amdhsa_reserve_vcc 0
		.amdhsa_reserve_flat_scratch 0
		.amdhsa_float_round_mode_32 0
		.amdhsa_float_round_mode_16_64 0
		.amdhsa_float_denorm_mode_32 3
		.amdhsa_float_denorm_mode_16_64 3
		.amdhsa_dx10_clamp 1
		.amdhsa_ieee_mode 1
		.amdhsa_fp16_overflow 0
		.amdhsa_tg_split 0
		.amdhsa_exception_fp_ieee_invalid_op 0
		.amdhsa_exception_fp_denorm_src 0
		.amdhsa_exception_fp_ieee_div_zero 0
		.amdhsa_exception_fp_ieee_overflow 0
		.amdhsa_exception_fp_ieee_underflow 0
		.amdhsa_exception_fp_ieee_inexact 0
		.amdhsa_exception_int_div_zero 0
	.end_amdhsa_kernel
	.section	.text._ZN7rocprim17ROCPRIM_400000_NS6detail17trampoline_kernelINS0_14default_configENS1_27scan_by_key_config_selectorImiEEZZNS1_16scan_by_key_implILNS1_25lookback_scan_determinismE0ELb0ES3_N6thrust23THRUST_200600_302600_NS18transform_iteratorI9row_indexNS9_17counting_iteratorImNS9_11use_defaultESD_SD_EESD_SD_EENS9_6detail15normal_iteratorINS9_10device_ptrIiEEEESK_iNS9_4plusIvEENS9_8equal_toIvEEiEE10hipError_tPvRmT2_T3_T4_T5_mT6_T7_P12ihipStream_tbENKUlT_T0_E_clISt17integral_constantIbLb1EES15_EEDaS10_S11_EUlS10_E_NS1_11comp_targetILNS1_3genE8ELNS1_11target_archE1030ELNS1_3gpuE2ELNS1_3repE0EEENS1_30default_config_static_selectorELNS0_4arch9wavefront6targetE1EEEvT1_,"axG",@progbits,_ZN7rocprim17ROCPRIM_400000_NS6detail17trampoline_kernelINS0_14default_configENS1_27scan_by_key_config_selectorImiEEZZNS1_16scan_by_key_implILNS1_25lookback_scan_determinismE0ELb0ES3_N6thrust23THRUST_200600_302600_NS18transform_iteratorI9row_indexNS9_17counting_iteratorImNS9_11use_defaultESD_SD_EESD_SD_EENS9_6detail15normal_iteratorINS9_10device_ptrIiEEEESK_iNS9_4plusIvEENS9_8equal_toIvEEiEE10hipError_tPvRmT2_T3_T4_T5_mT6_T7_P12ihipStream_tbENKUlT_T0_E_clISt17integral_constantIbLb1EES15_EEDaS10_S11_EUlS10_E_NS1_11comp_targetILNS1_3genE8ELNS1_11target_archE1030ELNS1_3gpuE2ELNS1_3repE0EEENS1_30default_config_static_selectorELNS0_4arch9wavefront6targetE1EEEvT1_,comdat
.Lfunc_end22:
	.size	_ZN7rocprim17ROCPRIM_400000_NS6detail17trampoline_kernelINS0_14default_configENS1_27scan_by_key_config_selectorImiEEZZNS1_16scan_by_key_implILNS1_25lookback_scan_determinismE0ELb0ES3_N6thrust23THRUST_200600_302600_NS18transform_iteratorI9row_indexNS9_17counting_iteratorImNS9_11use_defaultESD_SD_EESD_SD_EENS9_6detail15normal_iteratorINS9_10device_ptrIiEEEESK_iNS9_4plusIvEENS9_8equal_toIvEEiEE10hipError_tPvRmT2_T3_T4_T5_mT6_T7_P12ihipStream_tbENKUlT_T0_E_clISt17integral_constantIbLb1EES15_EEDaS10_S11_EUlS10_E_NS1_11comp_targetILNS1_3genE8ELNS1_11target_archE1030ELNS1_3gpuE2ELNS1_3repE0EEENS1_30default_config_static_selectorELNS0_4arch9wavefront6targetE1EEEvT1_, .Lfunc_end22-_ZN7rocprim17ROCPRIM_400000_NS6detail17trampoline_kernelINS0_14default_configENS1_27scan_by_key_config_selectorImiEEZZNS1_16scan_by_key_implILNS1_25lookback_scan_determinismE0ELb0ES3_N6thrust23THRUST_200600_302600_NS18transform_iteratorI9row_indexNS9_17counting_iteratorImNS9_11use_defaultESD_SD_EESD_SD_EENS9_6detail15normal_iteratorINS9_10device_ptrIiEEEESK_iNS9_4plusIvEENS9_8equal_toIvEEiEE10hipError_tPvRmT2_T3_T4_T5_mT6_T7_P12ihipStream_tbENKUlT_T0_E_clISt17integral_constantIbLb1EES15_EEDaS10_S11_EUlS10_E_NS1_11comp_targetILNS1_3genE8ELNS1_11target_archE1030ELNS1_3gpuE2ELNS1_3repE0EEENS1_30default_config_static_selectorELNS0_4arch9wavefront6targetE1EEEvT1_
                                        ; -- End function
	.section	.AMDGPU.csdata,"",@progbits
; Kernel info:
; codeLenInByte = 0
; NumSgprs: 4
; NumVgprs: 0
; NumAgprs: 0
; TotalNumVgprs: 0
; ScratchSize: 0
; MemoryBound: 0
; FloatMode: 240
; IeeeMode: 1
; LDSByteSize: 0 bytes/workgroup (compile time only)
; SGPRBlocks: 0
; VGPRBlocks: 0
; NumSGPRsForWavesPerEU: 4
; NumVGPRsForWavesPerEU: 1
; AccumOffset: 4
; Occupancy: 8
; WaveLimiterHint : 0
; COMPUTE_PGM_RSRC2:SCRATCH_EN: 0
; COMPUTE_PGM_RSRC2:USER_SGPR: 6
; COMPUTE_PGM_RSRC2:TRAP_HANDLER: 0
; COMPUTE_PGM_RSRC2:TGID_X_EN: 1
; COMPUTE_PGM_RSRC2:TGID_Y_EN: 0
; COMPUTE_PGM_RSRC2:TGID_Z_EN: 0
; COMPUTE_PGM_RSRC2:TIDIG_COMP_CNT: 0
; COMPUTE_PGM_RSRC3_GFX90A:ACCUM_OFFSET: 0
; COMPUTE_PGM_RSRC3_GFX90A:TG_SPLIT: 0
	.section	.text._ZN7rocprim17ROCPRIM_400000_NS6detail30init_device_scan_by_key_kernelINS1_19lookback_scan_stateINS0_5tupleIJibEEELb1ELb1EEEN6thrust23THRUST_200600_302600_NS18transform_iteratorI9row_indexNS8_17counting_iteratorImNS8_11use_defaultESC_SC_EESC_SC_EEjNS1_16block_id_wrapperIjLb0EEEEEvT_jjPNSH_10value_typeET0_PNSt15iterator_traitsISK_E10value_typeEmT1_T2_,"axG",@progbits,_ZN7rocprim17ROCPRIM_400000_NS6detail30init_device_scan_by_key_kernelINS1_19lookback_scan_stateINS0_5tupleIJibEEELb1ELb1EEEN6thrust23THRUST_200600_302600_NS18transform_iteratorI9row_indexNS8_17counting_iteratorImNS8_11use_defaultESC_SC_EESC_SC_EEjNS1_16block_id_wrapperIjLb0EEEEEvT_jjPNSH_10value_typeET0_PNSt15iterator_traitsISK_E10value_typeEmT1_T2_,comdat
	.protected	_ZN7rocprim17ROCPRIM_400000_NS6detail30init_device_scan_by_key_kernelINS1_19lookback_scan_stateINS0_5tupleIJibEEELb1ELb1EEEN6thrust23THRUST_200600_302600_NS18transform_iteratorI9row_indexNS8_17counting_iteratorImNS8_11use_defaultESC_SC_EESC_SC_EEjNS1_16block_id_wrapperIjLb0EEEEEvT_jjPNSH_10value_typeET0_PNSt15iterator_traitsISK_E10value_typeEmT1_T2_ ; -- Begin function _ZN7rocprim17ROCPRIM_400000_NS6detail30init_device_scan_by_key_kernelINS1_19lookback_scan_stateINS0_5tupleIJibEEELb1ELb1EEEN6thrust23THRUST_200600_302600_NS18transform_iteratorI9row_indexNS8_17counting_iteratorImNS8_11use_defaultESC_SC_EESC_SC_EEjNS1_16block_id_wrapperIjLb0EEEEEvT_jjPNSH_10value_typeET0_PNSt15iterator_traitsISK_E10value_typeEmT1_T2_
	.globl	_ZN7rocprim17ROCPRIM_400000_NS6detail30init_device_scan_by_key_kernelINS1_19lookback_scan_stateINS0_5tupleIJibEEELb1ELb1EEEN6thrust23THRUST_200600_302600_NS18transform_iteratorI9row_indexNS8_17counting_iteratorImNS8_11use_defaultESC_SC_EESC_SC_EEjNS1_16block_id_wrapperIjLb0EEEEEvT_jjPNSH_10value_typeET0_PNSt15iterator_traitsISK_E10value_typeEmT1_T2_
	.p2align	8
	.type	_ZN7rocprim17ROCPRIM_400000_NS6detail30init_device_scan_by_key_kernelINS1_19lookback_scan_stateINS0_5tupleIJibEEELb1ELb1EEEN6thrust23THRUST_200600_302600_NS18transform_iteratorI9row_indexNS8_17counting_iteratorImNS8_11use_defaultESC_SC_EESC_SC_EEjNS1_16block_id_wrapperIjLb0EEEEEvT_jjPNSH_10value_typeET0_PNSt15iterator_traitsISK_E10value_typeEmT1_T2_,@function
_ZN7rocprim17ROCPRIM_400000_NS6detail30init_device_scan_by_key_kernelINS1_19lookback_scan_stateINS0_5tupleIJibEEELb1ELb1EEEN6thrust23THRUST_200600_302600_NS18transform_iteratorI9row_indexNS8_17counting_iteratorImNS8_11use_defaultESC_SC_EESC_SC_EEjNS1_16block_id_wrapperIjLb0EEEEEvT_jjPNSH_10value_typeET0_PNSt15iterator_traitsISK_E10value_typeEmT1_T2_: ; @_ZN7rocprim17ROCPRIM_400000_NS6detail30init_device_scan_by_key_kernelINS1_19lookback_scan_stateINS0_5tupleIJibEEELb1ELb1EEEN6thrust23THRUST_200600_302600_NS18transform_iteratorI9row_indexNS8_17counting_iteratorImNS8_11use_defaultESC_SC_EESC_SC_EEjNS1_16block_id_wrapperIjLb0EEEEEvT_jjPNSH_10value_typeET0_PNSt15iterator_traitsISK_E10value_typeEmT1_T2_
; %bb.0:
	s_load_dword s0, s[4:5], 0x4c
	s_load_dwordx8 s[8:15], s[4:5], 0x0
	s_load_dword s18, s[4:5], 0x40
	s_waitcnt lgkmcnt(0)
	s_and_b32 s19, s0, 0xffff
	s_mul_i32 s6, s6, s19
	s_cmp_eq_u64 s[12:13], 0
	v_add_u32_e32 v4, s6, v0
	s_cbranch_scc1 .LBB23_10
; %bb.1:
	s_cmp_lt_u32 s11, s10
	s_cselect_b32 s0, s11, 0
	s_mov_b32 s3, 0
	v_cmp_eq_u32_e32 vcc, s0, v4
	s_and_saveexec_b64 s[0:1], vcc
	s_cbranch_execz .LBB23_9
; %bb.2:
	s_add_i32 s2, s11, 64
	s_lshl_b64 s[2:3], s[2:3], 4
	s_add_u32 s16, s8, s2
	s_addc_u32 s17, s9, s3
	v_pk_mov_b32 v[0:1], s[16:17], s[16:17] op_sel:[0,1]
	;;#ASMSTART
	global_load_dwordx4 v[0:3], v[0:1] off glc	
s_waitcnt vmcnt(0)
	;;#ASMEND
	v_mov_b32_e32 v7, 0
	v_and_b32_e32 v6, 0xff, v2
	s_mov_b64 s[6:7], 0
	v_cmp_eq_u64_e32 vcc, 0, v[6:7]
	s_and_saveexec_b64 s[2:3], vcc
	s_cbranch_execz .LBB23_8
; %bb.3:
	s_mov_b32 s11, 1
	v_pk_mov_b32 v[8:9], s[16:17], s[16:17] op_sel:[0,1]
.LBB23_4:                               ; =>This Loop Header: Depth=1
                                        ;     Child Loop BB23_5 Depth 2
	s_max_u32 s16, s11, 1
.LBB23_5:                               ;   Parent Loop BB23_4 Depth=1
                                        ; =>  This Inner Loop Header: Depth=2
	s_add_i32 s16, s16, -1
	s_cmp_eq_u32 s16, 0
	s_sleep 1
	s_cbranch_scc0 .LBB23_5
; %bb.6:                                ;   in Loop: Header=BB23_4 Depth=1
	s_cmp_lt_u32 s11, 32
	s_cselect_b64 s[16:17], -1, 0
	s_cmp_lg_u64 s[16:17], 0
	;;#ASMSTART
	global_load_dwordx4 v[0:3], v[8:9] off glc	
s_waitcnt vmcnt(0)
	;;#ASMEND
	v_and_b32_e32 v6, 0xff, v2
	s_addc_u32 s11, s11, 0
	v_cmp_ne_u64_e32 vcc, 0, v[6:7]
	s_or_b64 s[6:7], vcc, s[6:7]
	s_andn2_b64 exec, exec, s[6:7]
	s_cbranch_execnz .LBB23_4
; %bb.7:
	s_or_b64 exec, exec, s[6:7]
.LBB23_8:
	s_or_b64 exec, exec, s[2:3]
	v_mov_b32_e32 v2, 0
	global_store_dword v2, v0, s[12:13]
	global_store_byte v2, v1, s[12:13] offset:4
.LBB23_9:
	s_or_b64 exec, exec, s[0:1]
.LBB23_10:
	v_cmp_gt_u32_e32 vcc, s10, v4
	s_and_saveexec_b64 s[0:1], vcc
	s_cbranch_execz .LBB23_12
; %bb.11:
	v_add_u32_e32 v0, 64, v4
	v_mov_b32_e32 v1, 0
	v_lshlrev_b64 v[2:3], 4, v[0:1]
	v_mov_b32_e32 v0, s9
	v_add_co_u32_e32 v6, vcc, s8, v2
	v_addc_co_u32_e32 v7, vcc, v0, v3, vcc
	v_mov_b32_e32 v0, v1
	v_mov_b32_e32 v2, v1
	;; [unrolled: 1-line block ×3, first 2 shown]
	global_store_dwordx4 v[6:7], v[0:3], off
.LBB23_12:
	s_or_b64 exec, exec, s[0:1]
	v_cmp_gt_u32_e32 vcc, 64, v4
	v_mov_b32_e32 v5, 0
	s_and_saveexec_b64 s[0:1], vcc
	s_cbranch_execz .LBB23_14
; %bb.13:
	v_lshlrev_b64 v[0:1], 4, v[4:5]
	v_mov_b32_e32 v2, s9
	v_add_co_u32_e32 v6, vcc, s8, v0
	v_addc_co_u32_e32 v7, vcc, v2, v1, vcc
	v_mov_b32_e32 v2, 0xff
	v_mov_b32_e32 v0, v5
	v_mov_b32_e32 v1, v5
	v_mov_b32_e32 v3, v5
	global_store_dwordx4 v[6:7], v[0:3], off
.LBB23_14:
	s_or_b64 exec, exec, s[0:1]
	s_load_dwordx2 s[2:3], s[4:5], 0x30
	s_waitcnt lgkmcnt(0)
	v_cmp_gt_u64_e32 vcc, s[2:3], v[4:5]
	s_and_saveexec_b64 s[0:1], vcc
	s_cbranch_execz .LBB23_21
; %bb.15:
	s_load_dword s6, s[4:5], 0x38
	s_load_dwordx4 s[8:11], s[4:5], 0x20
	v_lshlrev_b64 v[2:3], 3, v[4:5]
	s_mul_i32 s4, s18, s19
	s_mov_b32 s5, 0
	s_waitcnt lgkmcnt(0)
	s_add_i32 s0, s6, -1
	v_cvt_f32_u32_e32 v6, s8
	v_cvt_f32_u32_e32 v7, s9
	v_mov_b32_e32 v8, s11
	v_add_co_u32_e32 v2, vcc, s10, v2
	v_madmk_f32 v6, v7, 0x4f800000, v6
	v_rcp_f32_e32 v6, v6
	v_cvt_f32_u32_e32 v7, s8
	v_addc_co_u32_e32 v3, vcc, v8, v3, vcc
	v_mul_f32_e32 v6, 0x5f7ffffc, v6
	v_rcp_iflag_f32_e32 v7, v7
	v_mul_f32_e32 v8, 0x2f800000, v6
	v_trunc_f32_e32 v8, v8
	v_madmk_f32 v6, v8, 0xcf800000, v6
	v_cvt_u32_f32_e32 v10, v6
	v_mul_f32_e32 v6, 0x4f7ffffe, v7
	s_add_u32 s0, s0, s14
	v_cvt_u32_f32_e32 v11, v8
	v_cvt_u32_f32_e32 v12, v6
	s_addc_u32 s1, 0, s15
	v_pk_mov_b32 v[0:1], s[0:1], s[0:1] op_sel:[0,1]
	v_mad_u64_u32 v[0:1], s[0:1], s6, v4, v[0:1]
	s_mul_hi_u32 s14, s6, s4
	s_mul_i32 s15, s6, s4
	s_lshl_b64 s[6:7], s[4:5], 3
	s_mov_b64 s[10:11], 0
	v_mov_b32_e32 v6, 0
	s_branch .LBB23_17
.LBB23_16:                              ;   in Loop: Header=BB23_17 Depth=1
	s_or_b64 exec, exec, s[0:1]
	v_mov_b32_e32 v7, s5
	v_add_co_u32_e32 v4, vcc, s4, v4
	v_addc_co_u32_e32 v5, vcc, v5, v7, vcc
	v_mov_b32_e32 v7, s14
	v_add_co_u32_e32 v0, vcc, s15, v0
	v_addc_co_u32_e32 v1, vcc, v1, v7, vcc
	v_cmp_le_u64_e32 vcc, s[2:3], v[4:5]
	global_store_dwordx2 v[2:3], v[8:9], off
	v_mov_b32_e32 v7, s7
	s_or_b64 s[10:11], vcc, s[10:11]
	v_add_co_u32_e32 v2, vcc, s6, v2
	v_addc_co_u32_e32 v3, vcc, v3, v7, vcc
	s_andn2_b64 exec, exec, s[10:11]
	s_cbranch_execz .LBB23_21
.LBB23_17:                              ; =>This Inner Loop Header: Depth=1
	v_or_b32_e32 v7, s9, v1
	v_cmp_ne_u64_e32 vcc, 0, v[6:7]
                                        ; implicit-def: $vgpr8_vgpr9
	s_and_saveexec_b64 s[0:1], vcc
	s_xor_b64 s[12:13], exec, s[0:1]
	s_cbranch_execz .LBB23_19
; %bb.18:                               ;   in Loop: Header=BB23_17 Depth=1
	s_sub_u32 s0, 0, s8
	s_subb_u32 s1, 0, s9
	v_mul_hi_u32 v8, s0, v10
	v_mul_lo_u32 v9, s0, v11
	v_mul_lo_u32 v7, s1, v10
	v_add_u32_e32 v8, v8, v9
	v_add_u32_e32 v7, v8, v7
	v_mul_lo_u32 v13, s0, v10
	v_mul_lo_u32 v9, v10, v7
	v_mul_hi_u32 v14, v10, v13
	v_mul_hi_u32 v8, v10, v7
	v_add_co_u32_e32 v9, vcc, v14, v9
	v_addc_co_u32_e32 v8, vcc, 0, v8, vcc
	v_mul_hi_u32 v15, v11, v13
	v_mul_lo_u32 v13, v11, v13
	v_add_co_u32_e32 v9, vcc, v9, v13
	v_mul_hi_u32 v14, v11, v7
	v_addc_co_u32_e32 v8, vcc, v8, v15, vcc
	v_addc_co_u32_e32 v9, vcc, 0, v14, vcc
	v_mul_lo_u32 v7, v11, v7
	v_add_co_u32_e32 v7, vcc, v8, v7
	v_addc_co_u32_e32 v8, vcc, 0, v9, vcc
	v_add_co_u32_e32 v7, vcc, v10, v7
	v_addc_co_u32_e32 v8, vcc, v11, v8, vcc
	v_mul_lo_u32 v9, s0, v8
	v_mul_hi_u32 v13, s0, v7
	v_add_u32_e32 v9, v13, v9
	v_mul_lo_u32 v13, s1, v7
	v_add_u32_e32 v9, v9, v13
	v_mul_lo_u32 v14, s0, v7
	v_mul_hi_u32 v15, v8, v14
	v_mul_lo_u32 v16, v8, v14
	v_mul_lo_u32 v18, v7, v9
	v_mul_hi_u32 v14, v7, v14
	v_mul_hi_u32 v17, v7, v9
	v_add_co_u32_e32 v14, vcc, v14, v18
	v_addc_co_u32_e32 v17, vcc, 0, v17, vcc
	v_add_co_u32_e32 v14, vcc, v14, v16
	v_mul_hi_u32 v13, v8, v9
	v_addc_co_u32_e32 v14, vcc, v17, v15, vcc
	v_addc_co_u32_e32 v13, vcc, 0, v13, vcc
	v_mul_lo_u32 v9, v8, v9
	v_add_co_u32_e32 v9, vcc, v14, v9
	v_addc_co_u32_e32 v13, vcc, 0, v13, vcc
	v_add_co_u32_e32 v7, vcc, v7, v9
	v_addc_co_u32_e32 v13, vcc, v8, v13, vcc
	v_mad_u64_u32 v[8:9], s[0:1], v0, v13, 0
	v_mul_hi_u32 v14, v0, v7
	v_add_co_u32_e32 v16, vcc, v14, v8
	v_addc_co_u32_e32 v17, vcc, 0, v9, vcc
	v_mad_u64_u32 v[14:15], s[0:1], v1, v7, 0
	v_add_co_u32_e32 v7, vcc, v16, v14
	v_mad_u64_u32 v[8:9], s[0:1], v1, v13, 0
	v_addc_co_u32_e32 v7, vcc, v17, v15, vcc
	v_addc_co_u32_e32 v9, vcc, 0, v9, vcc
	v_add_co_u32_e32 v7, vcc, v7, v8
	v_addc_co_u32_e32 v13, vcc, 0, v9, vcc
	v_mul_lo_u32 v14, s9, v7
	v_mul_lo_u32 v15, s8, v13
	v_mad_u64_u32 v[8:9], s[0:1], s8, v7, 0
	v_add3_u32 v9, v9, v15, v14
	v_sub_u32_e32 v14, v1, v9
	v_mov_b32_e32 v15, s9
	v_sub_co_u32_e32 v8, vcc, v0, v8
	v_subb_co_u32_e64 v14, s[0:1], v14, v15, vcc
	v_subrev_co_u32_e64 v15, s[0:1], s8, v8
	v_subbrev_co_u32_e64 v14, s[0:1], 0, v14, s[0:1]
	v_cmp_le_u32_e64 s[0:1], s9, v14
	v_cndmask_b32_e64 v16, 0, -1, s[0:1]
	v_cmp_le_u32_e64 s[0:1], s8, v15
	v_cndmask_b32_e64 v15, 0, -1, s[0:1]
	v_cmp_eq_u32_e64 s[0:1], s9, v14
	v_cndmask_b32_e64 v14, v16, v15, s[0:1]
	v_add_co_u32_e64 v15, s[0:1], 2, v7
	v_addc_co_u32_e64 v16, s[0:1], 0, v13, s[0:1]
	v_add_co_u32_e64 v17, s[0:1], 1, v7
	v_addc_co_u32_e64 v18, s[0:1], 0, v13, s[0:1]
	v_subb_co_u32_e32 v9, vcc, v1, v9, vcc
	v_cmp_ne_u32_e64 s[0:1], 0, v14
	v_cmp_le_u32_e32 vcc, s9, v9
	v_cndmask_b32_e64 v14, v18, v16, s[0:1]
	v_cndmask_b32_e64 v16, 0, -1, vcc
	v_cmp_le_u32_e32 vcc, s8, v8
	v_cndmask_b32_e64 v8, 0, -1, vcc
	v_cmp_eq_u32_e32 vcc, s9, v9
	v_cndmask_b32_e32 v8, v16, v8, vcc
	v_cmp_ne_u32_e32 vcc, 0, v8
	v_cndmask_b32_e64 v8, v17, v15, s[0:1]
	v_cndmask_b32_e32 v9, v13, v14, vcc
	v_cndmask_b32_e32 v8, v7, v8, vcc
.LBB23_19:                              ;   in Loop: Header=BB23_17 Depth=1
	s_andn2_saveexec_b64 s[0:1], s[12:13]
	s_cbranch_execz .LBB23_16
; %bb.20:                               ;   in Loop: Header=BB23_17 Depth=1
	s_sub_i32 s12, 0, s8
	v_mul_lo_u32 v7, s12, v12
	v_mul_hi_u32 v7, v12, v7
	v_add_u32_e32 v7, v12, v7
	v_mul_hi_u32 v7, v0, v7
	v_mul_lo_u32 v8, v7, s8
	v_sub_u32_e32 v8, v0, v8
	v_subrev_u32_e32 v9, s8, v8
	v_cmp_le_u32_e32 vcc, s8, v8
	v_cndmask_b32_e32 v8, v8, v9, vcc
	v_add_u32_e32 v9, 1, v7
	v_cndmask_b32_e32 v7, v7, v9, vcc
	v_add_u32_e32 v9, 1, v7
	v_cmp_le_u32_e32 vcc, s8, v8
	v_cndmask_b32_e32 v8, v7, v9, vcc
	v_mov_b32_e32 v9, v6
	s_branch .LBB23_16
.LBB23_21:
	s_endpgm
	.section	.rodata,"a",@progbits
	.p2align	6, 0x0
	.amdhsa_kernel _ZN7rocprim17ROCPRIM_400000_NS6detail30init_device_scan_by_key_kernelINS1_19lookback_scan_stateINS0_5tupleIJibEEELb1ELb1EEEN6thrust23THRUST_200600_302600_NS18transform_iteratorI9row_indexNS8_17counting_iteratorImNS8_11use_defaultESC_SC_EESC_SC_EEjNS1_16block_id_wrapperIjLb0EEEEEvT_jjPNSH_10value_typeET0_PNSt15iterator_traitsISK_E10value_typeEmT1_T2_
		.amdhsa_group_segment_fixed_size 0
		.amdhsa_private_segment_fixed_size 0
		.amdhsa_kernarg_size 320
		.amdhsa_user_sgpr_count 6
		.amdhsa_user_sgpr_private_segment_buffer 1
		.amdhsa_user_sgpr_dispatch_ptr 0
		.amdhsa_user_sgpr_queue_ptr 0
		.amdhsa_user_sgpr_kernarg_segment_ptr 1
		.amdhsa_user_sgpr_dispatch_id 0
		.amdhsa_user_sgpr_flat_scratch_init 0
		.amdhsa_user_sgpr_kernarg_preload_length 0
		.amdhsa_user_sgpr_kernarg_preload_offset 0
		.amdhsa_user_sgpr_private_segment_size 0
		.amdhsa_uses_dynamic_stack 0
		.amdhsa_system_sgpr_private_segment_wavefront_offset 0
		.amdhsa_system_sgpr_workgroup_id_x 1
		.amdhsa_system_sgpr_workgroup_id_y 0
		.amdhsa_system_sgpr_workgroup_id_z 0
		.amdhsa_system_sgpr_workgroup_info 0
		.amdhsa_system_vgpr_workitem_id 0
		.amdhsa_next_free_vgpr 19
		.amdhsa_next_free_sgpr 20
		.amdhsa_accum_offset 20
		.amdhsa_reserve_vcc 1
		.amdhsa_reserve_flat_scratch 0
		.amdhsa_float_round_mode_32 0
		.amdhsa_float_round_mode_16_64 0
		.amdhsa_float_denorm_mode_32 3
		.amdhsa_float_denorm_mode_16_64 3
		.amdhsa_dx10_clamp 1
		.amdhsa_ieee_mode 1
		.amdhsa_fp16_overflow 0
		.amdhsa_tg_split 0
		.amdhsa_exception_fp_ieee_invalid_op 0
		.amdhsa_exception_fp_denorm_src 0
		.amdhsa_exception_fp_ieee_div_zero 0
		.amdhsa_exception_fp_ieee_overflow 0
		.amdhsa_exception_fp_ieee_underflow 0
		.amdhsa_exception_fp_ieee_inexact 0
		.amdhsa_exception_int_div_zero 0
	.end_amdhsa_kernel
	.section	.text._ZN7rocprim17ROCPRIM_400000_NS6detail30init_device_scan_by_key_kernelINS1_19lookback_scan_stateINS0_5tupleIJibEEELb1ELb1EEEN6thrust23THRUST_200600_302600_NS18transform_iteratorI9row_indexNS8_17counting_iteratorImNS8_11use_defaultESC_SC_EESC_SC_EEjNS1_16block_id_wrapperIjLb0EEEEEvT_jjPNSH_10value_typeET0_PNSt15iterator_traitsISK_E10value_typeEmT1_T2_,"axG",@progbits,_ZN7rocprim17ROCPRIM_400000_NS6detail30init_device_scan_by_key_kernelINS1_19lookback_scan_stateINS0_5tupleIJibEEELb1ELb1EEEN6thrust23THRUST_200600_302600_NS18transform_iteratorI9row_indexNS8_17counting_iteratorImNS8_11use_defaultESC_SC_EESC_SC_EEjNS1_16block_id_wrapperIjLb0EEEEEvT_jjPNSH_10value_typeET0_PNSt15iterator_traitsISK_E10value_typeEmT1_T2_,comdat
.Lfunc_end23:
	.size	_ZN7rocprim17ROCPRIM_400000_NS6detail30init_device_scan_by_key_kernelINS1_19lookback_scan_stateINS0_5tupleIJibEEELb1ELb1EEEN6thrust23THRUST_200600_302600_NS18transform_iteratorI9row_indexNS8_17counting_iteratorImNS8_11use_defaultESC_SC_EESC_SC_EEjNS1_16block_id_wrapperIjLb0EEEEEvT_jjPNSH_10value_typeET0_PNSt15iterator_traitsISK_E10value_typeEmT1_T2_, .Lfunc_end23-_ZN7rocprim17ROCPRIM_400000_NS6detail30init_device_scan_by_key_kernelINS1_19lookback_scan_stateINS0_5tupleIJibEEELb1ELb1EEEN6thrust23THRUST_200600_302600_NS18transform_iteratorI9row_indexNS8_17counting_iteratorImNS8_11use_defaultESC_SC_EESC_SC_EEjNS1_16block_id_wrapperIjLb0EEEEEvT_jjPNSH_10value_typeET0_PNSt15iterator_traitsISK_E10value_typeEmT1_T2_
                                        ; -- End function
	.section	.AMDGPU.csdata,"",@progbits
; Kernel info:
; codeLenInByte = 1336
; NumSgprs: 24
; NumVgprs: 19
; NumAgprs: 0
; TotalNumVgprs: 19
; ScratchSize: 0
; MemoryBound: 0
; FloatMode: 240
; IeeeMode: 1
; LDSByteSize: 0 bytes/workgroup (compile time only)
; SGPRBlocks: 2
; VGPRBlocks: 2
; NumSGPRsForWavesPerEU: 24
; NumVGPRsForWavesPerEU: 19
; AccumOffset: 20
; Occupancy: 8
; WaveLimiterHint : 0
; COMPUTE_PGM_RSRC2:SCRATCH_EN: 0
; COMPUTE_PGM_RSRC2:USER_SGPR: 6
; COMPUTE_PGM_RSRC2:TRAP_HANDLER: 0
; COMPUTE_PGM_RSRC2:TGID_X_EN: 1
; COMPUTE_PGM_RSRC2:TGID_Y_EN: 0
; COMPUTE_PGM_RSRC2:TGID_Z_EN: 0
; COMPUTE_PGM_RSRC2:TIDIG_COMP_CNT: 0
; COMPUTE_PGM_RSRC3_GFX90A:ACCUM_OFFSET: 4
; COMPUTE_PGM_RSRC3_GFX90A:TG_SPLIT: 0
	.section	.text._ZN7rocprim17ROCPRIM_400000_NS6detail30init_device_scan_by_key_kernelINS1_19lookback_scan_stateINS0_5tupleIJibEEELb1ELb1EEENS1_16block_id_wrapperIjLb0EEEEEvT_jjPNS9_10value_typeET0_,"axG",@progbits,_ZN7rocprim17ROCPRIM_400000_NS6detail30init_device_scan_by_key_kernelINS1_19lookback_scan_stateINS0_5tupleIJibEEELb1ELb1EEENS1_16block_id_wrapperIjLb0EEEEEvT_jjPNS9_10value_typeET0_,comdat
	.protected	_ZN7rocprim17ROCPRIM_400000_NS6detail30init_device_scan_by_key_kernelINS1_19lookback_scan_stateINS0_5tupleIJibEEELb1ELb1EEENS1_16block_id_wrapperIjLb0EEEEEvT_jjPNS9_10value_typeET0_ ; -- Begin function _ZN7rocprim17ROCPRIM_400000_NS6detail30init_device_scan_by_key_kernelINS1_19lookback_scan_stateINS0_5tupleIJibEEELb1ELb1EEENS1_16block_id_wrapperIjLb0EEEEEvT_jjPNS9_10value_typeET0_
	.globl	_ZN7rocprim17ROCPRIM_400000_NS6detail30init_device_scan_by_key_kernelINS1_19lookback_scan_stateINS0_5tupleIJibEEELb1ELb1EEENS1_16block_id_wrapperIjLb0EEEEEvT_jjPNS9_10value_typeET0_
	.p2align	8
	.type	_ZN7rocprim17ROCPRIM_400000_NS6detail30init_device_scan_by_key_kernelINS1_19lookback_scan_stateINS0_5tupleIJibEEELb1ELb1EEENS1_16block_id_wrapperIjLb0EEEEEvT_jjPNS9_10value_typeET0_,@function
_ZN7rocprim17ROCPRIM_400000_NS6detail30init_device_scan_by_key_kernelINS1_19lookback_scan_stateINS0_5tupleIJibEEELb1ELb1EEENS1_16block_id_wrapperIjLb0EEEEEvT_jjPNS9_10value_typeET0_: ; @_ZN7rocprim17ROCPRIM_400000_NS6detail30init_device_scan_by_key_kernelINS1_19lookback_scan_stateINS0_5tupleIJibEEELb1ELb1EEENS1_16block_id_wrapperIjLb0EEEEEvT_jjPNS9_10value_typeET0_
; %bb.0:
	s_load_dword s7, s[4:5], 0x2c
	s_load_dwordx2 s[8:9], s[4:5], 0x10
	s_load_dwordx4 s[0:3], s[4:5], 0x0
	s_waitcnt lgkmcnt(0)
	s_and_b32 s4, s7, 0xffff
	s_mul_i32 s6, s6, s4
	s_cmp_eq_u64 s[8:9], 0
	v_add_u32_e32 v0, s6, v0
	s_cbranch_scc1 .LBB24_10
; %bb.1:
	s_cmp_lt_u32 s3, s2
	s_cselect_b32 s4, s3, 0
	s_mov_b32 s7, 0
	v_cmp_eq_u32_e32 vcc, s4, v0
	s_and_saveexec_b64 s[4:5], vcc
	s_cbranch_execz .LBB24_9
; %bb.2:
	s_add_i32 s6, s3, 64
	s_lshl_b64 s[6:7], s[6:7], 4
	s_add_u32 s12, s0, s6
	s_addc_u32 s13, s1, s7
	v_pk_mov_b32 v[2:3], s[12:13], s[12:13] op_sel:[0,1]
	;;#ASMSTART
	global_load_dwordx4 v[2:5], v[2:3] off glc	
s_waitcnt vmcnt(0)
	;;#ASMEND
	v_mov_b32_e32 v7, 0
	v_and_b32_e32 v6, 0xff, v4
	s_mov_b64 s[10:11], 0
	v_cmp_eq_u64_e32 vcc, 0, v[6:7]
	s_and_saveexec_b64 s[6:7], vcc
	s_cbranch_execz .LBB24_8
; %bb.3:
	s_mov_b32 s3, 1
	v_pk_mov_b32 v[8:9], s[12:13], s[12:13] op_sel:[0,1]
.LBB24_4:                               ; =>This Loop Header: Depth=1
                                        ;     Child Loop BB24_5 Depth 2
	s_max_u32 s12, s3, 1
.LBB24_5:                               ;   Parent Loop BB24_4 Depth=1
                                        ; =>  This Inner Loop Header: Depth=2
	s_add_i32 s12, s12, -1
	s_cmp_eq_u32 s12, 0
	s_sleep 1
	s_cbranch_scc0 .LBB24_5
; %bb.6:                                ;   in Loop: Header=BB24_4 Depth=1
	s_cmp_lt_u32 s3, 32
	s_cselect_b64 s[12:13], -1, 0
	s_cmp_lg_u64 s[12:13], 0
	;;#ASMSTART
	global_load_dwordx4 v[2:5], v[8:9] off glc	
s_waitcnt vmcnt(0)
	;;#ASMEND
	v_and_b32_e32 v6, 0xff, v4
	s_addc_u32 s3, s3, 0
	v_cmp_ne_u64_e32 vcc, 0, v[6:7]
	s_or_b64 s[10:11], vcc, s[10:11]
	s_andn2_b64 exec, exec, s[10:11]
	s_cbranch_execnz .LBB24_4
; %bb.7:
	s_or_b64 exec, exec, s[10:11]
.LBB24_8:
	s_or_b64 exec, exec, s[6:7]
	v_mov_b32_e32 v1, 0
	global_store_dword v1, v2, s[8:9]
	global_store_byte v1, v3, s[8:9] offset:4
.LBB24_9:
	s_or_b64 exec, exec, s[4:5]
.LBB24_10:
	v_cmp_gt_u32_e32 vcc, s2, v0
	s_and_saveexec_b64 s[2:3], vcc
	s_cbranch_execnz .LBB24_13
; %bb.11:
	s_or_b64 exec, exec, s[2:3]
	v_cmp_gt_u32_e32 vcc, 64, v0
	s_and_saveexec_b64 s[2:3], vcc
	s_cbranch_execnz .LBB24_14
.LBB24_12:
	s_endpgm
.LBB24_13:
	v_add_u32_e32 v2, 64, v0
	v_mov_b32_e32 v3, 0
	v_lshlrev_b64 v[4:5], 4, v[2:3]
	v_mov_b32_e32 v1, s1
	v_add_co_u32_e32 v6, vcc, s0, v4
	v_addc_co_u32_e32 v7, vcc, v1, v5, vcc
	v_mov_b32_e32 v2, v3
	v_mov_b32_e32 v4, v3
	;; [unrolled: 1-line block ×3, first 2 shown]
	global_store_dwordx4 v[6:7], v[2:5], off
	s_or_b64 exec, exec, s[2:3]
	v_cmp_gt_u32_e32 vcc, 64, v0
	s_and_saveexec_b64 s[2:3], vcc
	s_cbranch_execz .LBB24_12
.LBB24_14:
	v_mov_b32_e32 v1, 0
	v_lshlrev_b64 v[2:3], 4, v[0:1]
	v_mov_b32_e32 v0, s1
	v_add_co_u32_e32 v4, vcc, s0, v2
	v_addc_co_u32_e32 v5, vcc, v0, v3, vcc
	v_mov_b32_e32 v2, 0xff
	v_mov_b32_e32 v0, v1
	;; [unrolled: 1-line block ×3, first 2 shown]
	global_store_dwordx4 v[4:5], v[0:3], off
	s_endpgm
	.section	.rodata,"a",@progbits
	.p2align	6, 0x0
	.amdhsa_kernel _ZN7rocprim17ROCPRIM_400000_NS6detail30init_device_scan_by_key_kernelINS1_19lookback_scan_stateINS0_5tupleIJibEEELb1ELb1EEENS1_16block_id_wrapperIjLb0EEEEEvT_jjPNS9_10value_typeET0_
		.amdhsa_group_segment_fixed_size 0
		.amdhsa_private_segment_fixed_size 0
		.amdhsa_kernarg_size 288
		.amdhsa_user_sgpr_count 6
		.amdhsa_user_sgpr_private_segment_buffer 1
		.amdhsa_user_sgpr_dispatch_ptr 0
		.amdhsa_user_sgpr_queue_ptr 0
		.amdhsa_user_sgpr_kernarg_segment_ptr 1
		.amdhsa_user_sgpr_dispatch_id 0
		.amdhsa_user_sgpr_flat_scratch_init 0
		.amdhsa_user_sgpr_kernarg_preload_length 0
		.amdhsa_user_sgpr_kernarg_preload_offset 0
		.amdhsa_user_sgpr_private_segment_size 0
		.amdhsa_uses_dynamic_stack 0
		.amdhsa_system_sgpr_private_segment_wavefront_offset 0
		.amdhsa_system_sgpr_workgroup_id_x 1
		.amdhsa_system_sgpr_workgroup_id_y 0
		.amdhsa_system_sgpr_workgroup_id_z 0
		.amdhsa_system_sgpr_workgroup_info 0
		.amdhsa_system_vgpr_workitem_id 0
		.amdhsa_next_free_vgpr 10
		.amdhsa_next_free_sgpr 14
		.amdhsa_accum_offset 12
		.amdhsa_reserve_vcc 1
		.amdhsa_reserve_flat_scratch 0
		.amdhsa_float_round_mode_32 0
		.amdhsa_float_round_mode_16_64 0
		.amdhsa_float_denorm_mode_32 3
		.amdhsa_float_denorm_mode_16_64 3
		.amdhsa_dx10_clamp 1
		.amdhsa_ieee_mode 1
		.amdhsa_fp16_overflow 0
		.amdhsa_tg_split 0
		.amdhsa_exception_fp_ieee_invalid_op 0
		.amdhsa_exception_fp_denorm_src 0
		.amdhsa_exception_fp_ieee_div_zero 0
		.amdhsa_exception_fp_ieee_overflow 0
		.amdhsa_exception_fp_ieee_underflow 0
		.amdhsa_exception_fp_ieee_inexact 0
		.amdhsa_exception_int_div_zero 0
	.end_amdhsa_kernel
	.section	.text._ZN7rocprim17ROCPRIM_400000_NS6detail30init_device_scan_by_key_kernelINS1_19lookback_scan_stateINS0_5tupleIJibEEELb1ELb1EEENS1_16block_id_wrapperIjLb0EEEEEvT_jjPNS9_10value_typeET0_,"axG",@progbits,_ZN7rocprim17ROCPRIM_400000_NS6detail30init_device_scan_by_key_kernelINS1_19lookback_scan_stateINS0_5tupleIJibEEELb1ELb1EEENS1_16block_id_wrapperIjLb0EEEEEvT_jjPNS9_10value_typeET0_,comdat
.Lfunc_end24:
	.size	_ZN7rocprim17ROCPRIM_400000_NS6detail30init_device_scan_by_key_kernelINS1_19lookback_scan_stateINS0_5tupleIJibEEELb1ELb1EEENS1_16block_id_wrapperIjLb0EEEEEvT_jjPNS9_10value_typeET0_, .Lfunc_end24-_ZN7rocprim17ROCPRIM_400000_NS6detail30init_device_scan_by_key_kernelINS1_19lookback_scan_stateINS0_5tupleIJibEEELb1ELb1EEENS1_16block_id_wrapperIjLb0EEEEEvT_jjPNS9_10value_typeET0_
                                        ; -- End function
	.section	.AMDGPU.csdata,"",@progbits
; Kernel info:
; codeLenInByte = 412
; NumSgprs: 18
; NumVgprs: 10
; NumAgprs: 0
; TotalNumVgprs: 10
; ScratchSize: 0
; MemoryBound: 0
; FloatMode: 240
; IeeeMode: 1
; LDSByteSize: 0 bytes/workgroup (compile time only)
; SGPRBlocks: 2
; VGPRBlocks: 1
; NumSGPRsForWavesPerEU: 18
; NumVGPRsForWavesPerEU: 10
; AccumOffset: 12
; Occupancy: 8
; WaveLimiterHint : 0
; COMPUTE_PGM_RSRC2:SCRATCH_EN: 0
; COMPUTE_PGM_RSRC2:USER_SGPR: 6
; COMPUTE_PGM_RSRC2:TRAP_HANDLER: 0
; COMPUTE_PGM_RSRC2:TGID_X_EN: 1
; COMPUTE_PGM_RSRC2:TGID_Y_EN: 0
; COMPUTE_PGM_RSRC2:TGID_Z_EN: 0
; COMPUTE_PGM_RSRC2:TIDIG_COMP_CNT: 0
; COMPUTE_PGM_RSRC3_GFX90A:ACCUM_OFFSET: 2
; COMPUTE_PGM_RSRC3_GFX90A:TG_SPLIT: 0
	.section	.text._ZN7rocprim17ROCPRIM_400000_NS6detail17trampoline_kernelINS0_14default_configENS1_27scan_by_key_config_selectorImiEEZZNS1_16scan_by_key_implILNS1_25lookback_scan_determinismE0ELb0ES3_N6thrust23THRUST_200600_302600_NS18transform_iteratorI9row_indexNS9_17counting_iteratorImNS9_11use_defaultESD_SD_EESD_SD_EENS9_6detail15normal_iteratorINS9_10device_ptrIiEEEESK_iNS9_4plusIvEENS9_8equal_toIvEEiEE10hipError_tPvRmT2_T3_T4_T5_mT6_T7_P12ihipStream_tbENKUlT_T0_E_clISt17integral_constantIbLb1EES14_IbLb0EEEEDaS10_S11_EUlS10_E_NS1_11comp_targetILNS1_3genE0ELNS1_11target_archE4294967295ELNS1_3gpuE0ELNS1_3repE0EEENS1_30default_config_static_selectorELNS0_4arch9wavefront6targetE1EEEvT1_,"axG",@progbits,_ZN7rocprim17ROCPRIM_400000_NS6detail17trampoline_kernelINS0_14default_configENS1_27scan_by_key_config_selectorImiEEZZNS1_16scan_by_key_implILNS1_25lookback_scan_determinismE0ELb0ES3_N6thrust23THRUST_200600_302600_NS18transform_iteratorI9row_indexNS9_17counting_iteratorImNS9_11use_defaultESD_SD_EESD_SD_EENS9_6detail15normal_iteratorINS9_10device_ptrIiEEEESK_iNS9_4plusIvEENS9_8equal_toIvEEiEE10hipError_tPvRmT2_T3_T4_T5_mT6_T7_P12ihipStream_tbENKUlT_T0_E_clISt17integral_constantIbLb1EES14_IbLb0EEEEDaS10_S11_EUlS10_E_NS1_11comp_targetILNS1_3genE0ELNS1_11target_archE4294967295ELNS1_3gpuE0ELNS1_3repE0EEENS1_30default_config_static_selectorELNS0_4arch9wavefront6targetE1EEEvT1_,comdat
	.protected	_ZN7rocprim17ROCPRIM_400000_NS6detail17trampoline_kernelINS0_14default_configENS1_27scan_by_key_config_selectorImiEEZZNS1_16scan_by_key_implILNS1_25lookback_scan_determinismE0ELb0ES3_N6thrust23THRUST_200600_302600_NS18transform_iteratorI9row_indexNS9_17counting_iteratorImNS9_11use_defaultESD_SD_EESD_SD_EENS9_6detail15normal_iteratorINS9_10device_ptrIiEEEESK_iNS9_4plusIvEENS9_8equal_toIvEEiEE10hipError_tPvRmT2_T3_T4_T5_mT6_T7_P12ihipStream_tbENKUlT_T0_E_clISt17integral_constantIbLb1EES14_IbLb0EEEEDaS10_S11_EUlS10_E_NS1_11comp_targetILNS1_3genE0ELNS1_11target_archE4294967295ELNS1_3gpuE0ELNS1_3repE0EEENS1_30default_config_static_selectorELNS0_4arch9wavefront6targetE1EEEvT1_ ; -- Begin function _ZN7rocprim17ROCPRIM_400000_NS6detail17trampoline_kernelINS0_14default_configENS1_27scan_by_key_config_selectorImiEEZZNS1_16scan_by_key_implILNS1_25lookback_scan_determinismE0ELb0ES3_N6thrust23THRUST_200600_302600_NS18transform_iteratorI9row_indexNS9_17counting_iteratorImNS9_11use_defaultESD_SD_EESD_SD_EENS9_6detail15normal_iteratorINS9_10device_ptrIiEEEESK_iNS9_4plusIvEENS9_8equal_toIvEEiEE10hipError_tPvRmT2_T3_T4_T5_mT6_T7_P12ihipStream_tbENKUlT_T0_E_clISt17integral_constantIbLb1EES14_IbLb0EEEEDaS10_S11_EUlS10_E_NS1_11comp_targetILNS1_3genE0ELNS1_11target_archE4294967295ELNS1_3gpuE0ELNS1_3repE0EEENS1_30default_config_static_selectorELNS0_4arch9wavefront6targetE1EEEvT1_
	.globl	_ZN7rocprim17ROCPRIM_400000_NS6detail17trampoline_kernelINS0_14default_configENS1_27scan_by_key_config_selectorImiEEZZNS1_16scan_by_key_implILNS1_25lookback_scan_determinismE0ELb0ES3_N6thrust23THRUST_200600_302600_NS18transform_iteratorI9row_indexNS9_17counting_iteratorImNS9_11use_defaultESD_SD_EESD_SD_EENS9_6detail15normal_iteratorINS9_10device_ptrIiEEEESK_iNS9_4plusIvEENS9_8equal_toIvEEiEE10hipError_tPvRmT2_T3_T4_T5_mT6_T7_P12ihipStream_tbENKUlT_T0_E_clISt17integral_constantIbLb1EES14_IbLb0EEEEDaS10_S11_EUlS10_E_NS1_11comp_targetILNS1_3genE0ELNS1_11target_archE4294967295ELNS1_3gpuE0ELNS1_3repE0EEENS1_30default_config_static_selectorELNS0_4arch9wavefront6targetE1EEEvT1_
	.p2align	8
	.type	_ZN7rocprim17ROCPRIM_400000_NS6detail17trampoline_kernelINS0_14default_configENS1_27scan_by_key_config_selectorImiEEZZNS1_16scan_by_key_implILNS1_25lookback_scan_determinismE0ELb0ES3_N6thrust23THRUST_200600_302600_NS18transform_iteratorI9row_indexNS9_17counting_iteratorImNS9_11use_defaultESD_SD_EESD_SD_EENS9_6detail15normal_iteratorINS9_10device_ptrIiEEEESK_iNS9_4plusIvEENS9_8equal_toIvEEiEE10hipError_tPvRmT2_T3_T4_T5_mT6_T7_P12ihipStream_tbENKUlT_T0_E_clISt17integral_constantIbLb1EES14_IbLb0EEEEDaS10_S11_EUlS10_E_NS1_11comp_targetILNS1_3genE0ELNS1_11target_archE4294967295ELNS1_3gpuE0ELNS1_3repE0EEENS1_30default_config_static_selectorELNS0_4arch9wavefront6targetE1EEEvT1_,@function
_ZN7rocprim17ROCPRIM_400000_NS6detail17trampoline_kernelINS0_14default_configENS1_27scan_by_key_config_selectorImiEEZZNS1_16scan_by_key_implILNS1_25lookback_scan_determinismE0ELb0ES3_N6thrust23THRUST_200600_302600_NS18transform_iteratorI9row_indexNS9_17counting_iteratorImNS9_11use_defaultESD_SD_EESD_SD_EENS9_6detail15normal_iteratorINS9_10device_ptrIiEEEESK_iNS9_4plusIvEENS9_8equal_toIvEEiEE10hipError_tPvRmT2_T3_T4_T5_mT6_T7_P12ihipStream_tbENKUlT_T0_E_clISt17integral_constantIbLb1EES14_IbLb0EEEEDaS10_S11_EUlS10_E_NS1_11comp_targetILNS1_3genE0ELNS1_11target_archE4294967295ELNS1_3gpuE0ELNS1_3repE0EEENS1_30default_config_static_selectorELNS0_4arch9wavefront6targetE1EEEvT1_: ; @_ZN7rocprim17ROCPRIM_400000_NS6detail17trampoline_kernelINS0_14default_configENS1_27scan_by_key_config_selectorImiEEZZNS1_16scan_by_key_implILNS1_25lookback_scan_determinismE0ELb0ES3_N6thrust23THRUST_200600_302600_NS18transform_iteratorI9row_indexNS9_17counting_iteratorImNS9_11use_defaultESD_SD_EESD_SD_EENS9_6detail15normal_iteratorINS9_10device_ptrIiEEEESK_iNS9_4plusIvEENS9_8equal_toIvEEiEE10hipError_tPvRmT2_T3_T4_T5_mT6_T7_P12ihipStream_tbENKUlT_T0_E_clISt17integral_constantIbLb1EES14_IbLb0EEEEDaS10_S11_EUlS10_E_NS1_11comp_targetILNS1_3genE0ELNS1_11target_archE4294967295ELNS1_3gpuE0ELNS1_3repE0EEENS1_30default_config_static_selectorELNS0_4arch9wavefront6targetE1EEEvT1_
; %bb.0:
	.section	.rodata,"a",@progbits
	.p2align	6, 0x0
	.amdhsa_kernel _ZN7rocprim17ROCPRIM_400000_NS6detail17trampoline_kernelINS0_14default_configENS1_27scan_by_key_config_selectorImiEEZZNS1_16scan_by_key_implILNS1_25lookback_scan_determinismE0ELb0ES3_N6thrust23THRUST_200600_302600_NS18transform_iteratorI9row_indexNS9_17counting_iteratorImNS9_11use_defaultESD_SD_EESD_SD_EENS9_6detail15normal_iteratorINS9_10device_ptrIiEEEESK_iNS9_4plusIvEENS9_8equal_toIvEEiEE10hipError_tPvRmT2_T3_T4_T5_mT6_T7_P12ihipStream_tbENKUlT_T0_E_clISt17integral_constantIbLb1EES14_IbLb0EEEEDaS10_S11_EUlS10_E_NS1_11comp_targetILNS1_3genE0ELNS1_11target_archE4294967295ELNS1_3gpuE0ELNS1_3repE0EEENS1_30default_config_static_selectorELNS0_4arch9wavefront6targetE1EEEvT1_
		.amdhsa_group_segment_fixed_size 0
		.amdhsa_private_segment_fixed_size 0
		.amdhsa_kernarg_size 120
		.amdhsa_user_sgpr_count 6
		.amdhsa_user_sgpr_private_segment_buffer 1
		.amdhsa_user_sgpr_dispatch_ptr 0
		.amdhsa_user_sgpr_queue_ptr 0
		.amdhsa_user_sgpr_kernarg_segment_ptr 1
		.amdhsa_user_sgpr_dispatch_id 0
		.amdhsa_user_sgpr_flat_scratch_init 0
		.amdhsa_user_sgpr_kernarg_preload_length 0
		.amdhsa_user_sgpr_kernarg_preload_offset 0
		.amdhsa_user_sgpr_private_segment_size 0
		.amdhsa_uses_dynamic_stack 0
		.amdhsa_system_sgpr_private_segment_wavefront_offset 0
		.amdhsa_system_sgpr_workgroup_id_x 1
		.amdhsa_system_sgpr_workgroup_id_y 0
		.amdhsa_system_sgpr_workgroup_id_z 0
		.amdhsa_system_sgpr_workgroup_info 0
		.amdhsa_system_vgpr_workitem_id 0
		.amdhsa_next_free_vgpr 1
		.amdhsa_next_free_sgpr 0
		.amdhsa_accum_offset 4
		.amdhsa_reserve_vcc 0
		.amdhsa_reserve_flat_scratch 0
		.amdhsa_float_round_mode_32 0
		.amdhsa_float_round_mode_16_64 0
		.amdhsa_float_denorm_mode_32 3
		.amdhsa_float_denorm_mode_16_64 3
		.amdhsa_dx10_clamp 1
		.amdhsa_ieee_mode 1
		.amdhsa_fp16_overflow 0
		.amdhsa_tg_split 0
		.amdhsa_exception_fp_ieee_invalid_op 0
		.amdhsa_exception_fp_denorm_src 0
		.amdhsa_exception_fp_ieee_div_zero 0
		.amdhsa_exception_fp_ieee_overflow 0
		.amdhsa_exception_fp_ieee_underflow 0
		.amdhsa_exception_fp_ieee_inexact 0
		.amdhsa_exception_int_div_zero 0
	.end_amdhsa_kernel
	.section	.text._ZN7rocprim17ROCPRIM_400000_NS6detail17trampoline_kernelINS0_14default_configENS1_27scan_by_key_config_selectorImiEEZZNS1_16scan_by_key_implILNS1_25lookback_scan_determinismE0ELb0ES3_N6thrust23THRUST_200600_302600_NS18transform_iteratorI9row_indexNS9_17counting_iteratorImNS9_11use_defaultESD_SD_EESD_SD_EENS9_6detail15normal_iteratorINS9_10device_ptrIiEEEESK_iNS9_4plusIvEENS9_8equal_toIvEEiEE10hipError_tPvRmT2_T3_T4_T5_mT6_T7_P12ihipStream_tbENKUlT_T0_E_clISt17integral_constantIbLb1EES14_IbLb0EEEEDaS10_S11_EUlS10_E_NS1_11comp_targetILNS1_3genE0ELNS1_11target_archE4294967295ELNS1_3gpuE0ELNS1_3repE0EEENS1_30default_config_static_selectorELNS0_4arch9wavefront6targetE1EEEvT1_,"axG",@progbits,_ZN7rocprim17ROCPRIM_400000_NS6detail17trampoline_kernelINS0_14default_configENS1_27scan_by_key_config_selectorImiEEZZNS1_16scan_by_key_implILNS1_25lookback_scan_determinismE0ELb0ES3_N6thrust23THRUST_200600_302600_NS18transform_iteratorI9row_indexNS9_17counting_iteratorImNS9_11use_defaultESD_SD_EESD_SD_EENS9_6detail15normal_iteratorINS9_10device_ptrIiEEEESK_iNS9_4plusIvEENS9_8equal_toIvEEiEE10hipError_tPvRmT2_T3_T4_T5_mT6_T7_P12ihipStream_tbENKUlT_T0_E_clISt17integral_constantIbLb1EES14_IbLb0EEEEDaS10_S11_EUlS10_E_NS1_11comp_targetILNS1_3genE0ELNS1_11target_archE4294967295ELNS1_3gpuE0ELNS1_3repE0EEENS1_30default_config_static_selectorELNS0_4arch9wavefront6targetE1EEEvT1_,comdat
.Lfunc_end25:
	.size	_ZN7rocprim17ROCPRIM_400000_NS6detail17trampoline_kernelINS0_14default_configENS1_27scan_by_key_config_selectorImiEEZZNS1_16scan_by_key_implILNS1_25lookback_scan_determinismE0ELb0ES3_N6thrust23THRUST_200600_302600_NS18transform_iteratorI9row_indexNS9_17counting_iteratorImNS9_11use_defaultESD_SD_EESD_SD_EENS9_6detail15normal_iteratorINS9_10device_ptrIiEEEESK_iNS9_4plusIvEENS9_8equal_toIvEEiEE10hipError_tPvRmT2_T3_T4_T5_mT6_T7_P12ihipStream_tbENKUlT_T0_E_clISt17integral_constantIbLb1EES14_IbLb0EEEEDaS10_S11_EUlS10_E_NS1_11comp_targetILNS1_3genE0ELNS1_11target_archE4294967295ELNS1_3gpuE0ELNS1_3repE0EEENS1_30default_config_static_selectorELNS0_4arch9wavefront6targetE1EEEvT1_, .Lfunc_end25-_ZN7rocprim17ROCPRIM_400000_NS6detail17trampoline_kernelINS0_14default_configENS1_27scan_by_key_config_selectorImiEEZZNS1_16scan_by_key_implILNS1_25lookback_scan_determinismE0ELb0ES3_N6thrust23THRUST_200600_302600_NS18transform_iteratorI9row_indexNS9_17counting_iteratorImNS9_11use_defaultESD_SD_EESD_SD_EENS9_6detail15normal_iteratorINS9_10device_ptrIiEEEESK_iNS9_4plusIvEENS9_8equal_toIvEEiEE10hipError_tPvRmT2_T3_T4_T5_mT6_T7_P12ihipStream_tbENKUlT_T0_E_clISt17integral_constantIbLb1EES14_IbLb0EEEEDaS10_S11_EUlS10_E_NS1_11comp_targetILNS1_3genE0ELNS1_11target_archE4294967295ELNS1_3gpuE0ELNS1_3repE0EEENS1_30default_config_static_selectorELNS0_4arch9wavefront6targetE1EEEvT1_
                                        ; -- End function
	.section	.AMDGPU.csdata,"",@progbits
; Kernel info:
; codeLenInByte = 0
; NumSgprs: 4
; NumVgprs: 0
; NumAgprs: 0
; TotalNumVgprs: 0
; ScratchSize: 0
; MemoryBound: 0
; FloatMode: 240
; IeeeMode: 1
; LDSByteSize: 0 bytes/workgroup (compile time only)
; SGPRBlocks: 0
; VGPRBlocks: 0
; NumSGPRsForWavesPerEU: 4
; NumVGPRsForWavesPerEU: 1
; AccumOffset: 4
; Occupancy: 8
; WaveLimiterHint : 0
; COMPUTE_PGM_RSRC2:SCRATCH_EN: 0
; COMPUTE_PGM_RSRC2:USER_SGPR: 6
; COMPUTE_PGM_RSRC2:TRAP_HANDLER: 0
; COMPUTE_PGM_RSRC2:TGID_X_EN: 1
; COMPUTE_PGM_RSRC2:TGID_Y_EN: 0
; COMPUTE_PGM_RSRC2:TGID_Z_EN: 0
; COMPUTE_PGM_RSRC2:TIDIG_COMP_CNT: 0
; COMPUTE_PGM_RSRC3_GFX90A:ACCUM_OFFSET: 0
; COMPUTE_PGM_RSRC3_GFX90A:TG_SPLIT: 0
	.section	.text._ZN7rocprim17ROCPRIM_400000_NS6detail17trampoline_kernelINS0_14default_configENS1_27scan_by_key_config_selectorImiEEZZNS1_16scan_by_key_implILNS1_25lookback_scan_determinismE0ELb0ES3_N6thrust23THRUST_200600_302600_NS18transform_iteratorI9row_indexNS9_17counting_iteratorImNS9_11use_defaultESD_SD_EESD_SD_EENS9_6detail15normal_iteratorINS9_10device_ptrIiEEEESK_iNS9_4plusIvEENS9_8equal_toIvEEiEE10hipError_tPvRmT2_T3_T4_T5_mT6_T7_P12ihipStream_tbENKUlT_T0_E_clISt17integral_constantIbLb1EES14_IbLb0EEEEDaS10_S11_EUlS10_E_NS1_11comp_targetILNS1_3genE10ELNS1_11target_archE1201ELNS1_3gpuE5ELNS1_3repE0EEENS1_30default_config_static_selectorELNS0_4arch9wavefront6targetE1EEEvT1_,"axG",@progbits,_ZN7rocprim17ROCPRIM_400000_NS6detail17trampoline_kernelINS0_14default_configENS1_27scan_by_key_config_selectorImiEEZZNS1_16scan_by_key_implILNS1_25lookback_scan_determinismE0ELb0ES3_N6thrust23THRUST_200600_302600_NS18transform_iteratorI9row_indexNS9_17counting_iteratorImNS9_11use_defaultESD_SD_EESD_SD_EENS9_6detail15normal_iteratorINS9_10device_ptrIiEEEESK_iNS9_4plusIvEENS9_8equal_toIvEEiEE10hipError_tPvRmT2_T3_T4_T5_mT6_T7_P12ihipStream_tbENKUlT_T0_E_clISt17integral_constantIbLb1EES14_IbLb0EEEEDaS10_S11_EUlS10_E_NS1_11comp_targetILNS1_3genE10ELNS1_11target_archE1201ELNS1_3gpuE5ELNS1_3repE0EEENS1_30default_config_static_selectorELNS0_4arch9wavefront6targetE1EEEvT1_,comdat
	.protected	_ZN7rocprim17ROCPRIM_400000_NS6detail17trampoline_kernelINS0_14default_configENS1_27scan_by_key_config_selectorImiEEZZNS1_16scan_by_key_implILNS1_25lookback_scan_determinismE0ELb0ES3_N6thrust23THRUST_200600_302600_NS18transform_iteratorI9row_indexNS9_17counting_iteratorImNS9_11use_defaultESD_SD_EESD_SD_EENS9_6detail15normal_iteratorINS9_10device_ptrIiEEEESK_iNS9_4plusIvEENS9_8equal_toIvEEiEE10hipError_tPvRmT2_T3_T4_T5_mT6_T7_P12ihipStream_tbENKUlT_T0_E_clISt17integral_constantIbLb1EES14_IbLb0EEEEDaS10_S11_EUlS10_E_NS1_11comp_targetILNS1_3genE10ELNS1_11target_archE1201ELNS1_3gpuE5ELNS1_3repE0EEENS1_30default_config_static_selectorELNS0_4arch9wavefront6targetE1EEEvT1_ ; -- Begin function _ZN7rocprim17ROCPRIM_400000_NS6detail17trampoline_kernelINS0_14default_configENS1_27scan_by_key_config_selectorImiEEZZNS1_16scan_by_key_implILNS1_25lookback_scan_determinismE0ELb0ES3_N6thrust23THRUST_200600_302600_NS18transform_iteratorI9row_indexNS9_17counting_iteratorImNS9_11use_defaultESD_SD_EESD_SD_EENS9_6detail15normal_iteratorINS9_10device_ptrIiEEEESK_iNS9_4plusIvEENS9_8equal_toIvEEiEE10hipError_tPvRmT2_T3_T4_T5_mT6_T7_P12ihipStream_tbENKUlT_T0_E_clISt17integral_constantIbLb1EES14_IbLb0EEEEDaS10_S11_EUlS10_E_NS1_11comp_targetILNS1_3genE10ELNS1_11target_archE1201ELNS1_3gpuE5ELNS1_3repE0EEENS1_30default_config_static_selectorELNS0_4arch9wavefront6targetE1EEEvT1_
	.globl	_ZN7rocprim17ROCPRIM_400000_NS6detail17trampoline_kernelINS0_14default_configENS1_27scan_by_key_config_selectorImiEEZZNS1_16scan_by_key_implILNS1_25lookback_scan_determinismE0ELb0ES3_N6thrust23THRUST_200600_302600_NS18transform_iteratorI9row_indexNS9_17counting_iteratorImNS9_11use_defaultESD_SD_EESD_SD_EENS9_6detail15normal_iteratorINS9_10device_ptrIiEEEESK_iNS9_4plusIvEENS9_8equal_toIvEEiEE10hipError_tPvRmT2_T3_T4_T5_mT6_T7_P12ihipStream_tbENKUlT_T0_E_clISt17integral_constantIbLb1EES14_IbLb0EEEEDaS10_S11_EUlS10_E_NS1_11comp_targetILNS1_3genE10ELNS1_11target_archE1201ELNS1_3gpuE5ELNS1_3repE0EEENS1_30default_config_static_selectorELNS0_4arch9wavefront6targetE1EEEvT1_
	.p2align	8
	.type	_ZN7rocprim17ROCPRIM_400000_NS6detail17trampoline_kernelINS0_14default_configENS1_27scan_by_key_config_selectorImiEEZZNS1_16scan_by_key_implILNS1_25lookback_scan_determinismE0ELb0ES3_N6thrust23THRUST_200600_302600_NS18transform_iteratorI9row_indexNS9_17counting_iteratorImNS9_11use_defaultESD_SD_EESD_SD_EENS9_6detail15normal_iteratorINS9_10device_ptrIiEEEESK_iNS9_4plusIvEENS9_8equal_toIvEEiEE10hipError_tPvRmT2_T3_T4_T5_mT6_T7_P12ihipStream_tbENKUlT_T0_E_clISt17integral_constantIbLb1EES14_IbLb0EEEEDaS10_S11_EUlS10_E_NS1_11comp_targetILNS1_3genE10ELNS1_11target_archE1201ELNS1_3gpuE5ELNS1_3repE0EEENS1_30default_config_static_selectorELNS0_4arch9wavefront6targetE1EEEvT1_,@function
_ZN7rocprim17ROCPRIM_400000_NS6detail17trampoline_kernelINS0_14default_configENS1_27scan_by_key_config_selectorImiEEZZNS1_16scan_by_key_implILNS1_25lookback_scan_determinismE0ELb0ES3_N6thrust23THRUST_200600_302600_NS18transform_iteratorI9row_indexNS9_17counting_iteratorImNS9_11use_defaultESD_SD_EESD_SD_EENS9_6detail15normal_iteratorINS9_10device_ptrIiEEEESK_iNS9_4plusIvEENS9_8equal_toIvEEiEE10hipError_tPvRmT2_T3_T4_T5_mT6_T7_P12ihipStream_tbENKUlT_T0_E_clISt17integral_constantIbLb1EES14_IbLb0EEEEDaS10_S11_EUlS10_E_NS1_11comp_targetILNS1_3genE10ELNS1_11target_archE1201ELNS1_3gpuE5ELNS1_3repE0EEENS1_30default_config_static_selectorELNS0_4arch9wavefront6targetE1EEEvT1_: ; @_ZN7rocprim17ROCPRIM_400000_NS6detail17trampoline_kernelINS0_14default_configENS1_27scan_by_key_config_selectorImiEEZZNS1_16scan_by_key_implILNS1_25lookback_scan_determinismE0ELb0ES3_N6thrust23THRUST_200600_302600_NS18transform_iteratorI9row_indexNS9_17counting_iteratorImNS9_11use_defaultESD_SD_EESD_SD_EENS9_6detail15normal_iteratorINS9_10device_ptrIiEEEESK_iNS9_4plusIvEENS9_8equal_toIvEEiEE10hipError_tPvRmT2_T3_T4_T5_mT6_T7_P12ihipStream_tbENKUlT_T0_E_clISt17integral_constantIbLb1EES14_IbLb0EEEEDaS10_S11_EUlS10_E_NS1_11comp_targetILNS1_3genE10ELNS1_11target_archE1201ELNS1_3gpuE5ELNS1_3repE0EEENS1_30default_config_static_selectorELNS0_4arch9wavefront6targetE1EEEvT1_
; %bb.0:
	.section	.rodata,"a",@progbits
	.p2align	6, 0x0
	.amdhsa_kernel _ZN7rocprim17ROCPRIM_400000_NS6detail17trampoline_kernelINS0_14default_configENS1_27scan_by_key_config_selectorImiEEZZNS1_16scan_by_key_implILNS1_25lookback_scan_determinismE0ELb0ES3_N6thrust23THRUST_200600_302600_NS18transform_iteratorI9row_indexNS9_17counting_iteratorImNS9_11use_defaultESD_SD_EESD_SD_EENS9_6detail15normal_iteratorINS9_10device_ptrIiEEEESK_iNS9_4plusIvEENS9_8equal_toIvEEiEE10hipError_tPvRmT2_T3_T4_T5_mT6_T7_P12ihipStream_tbENKUlT_T0_E_clISt17integral_constantIbLb1EES14_IbLb0EEEEDaS10_S11_EUlS10_E_NS1_11comp_targetILNS1_3genE10ELNS1_11target_archE1201ELNS1_3gpuE5ELNS1_3repE0EEENS1_30default_config_static_selectorELNS0_4arch9wavefront6targetE1EEEvT1_
		.amdhsa_group_segment_fixed_size 0
		.amdhsa_private_segment_fixed_size 0
		.amdhsa_kernarg_size 120
		.amdhsa_user_sgpr_count 6
		.amdhsa_user_sgpr_private_segment_buffer 1
		.amdhsa_user_sgpr_dispatch_ptr 0
		.amdhsa_user_sgpr_queue_ptr 0
		.amdhsa_user_sgpr_kernarg_segment_ptr 1
		.amdhsa_user_sgpr_dispatch_id 0
		.amdhsa_user_sgpr_flat_scratch_init 0
		.amdhsa_user_sgpr_kernarg_preload_length 0
		.amdhsa_user_sgpr_kernarg_preload_offset 0
		.amdhsa_user_sgpr_private_segment_size 0
		.amdhsa_uses_dynamic_stack 0
		.amdhsa_system_sgpr_private_segment_wavefront_offset 0
		.amdhsa_system_sgpr_workgroup_id_x 1
		.amdhsa_system_sgpr_workgroup_id_y 0
		.amdhsa_system_sgpr_workgroup_id_z 0
		.amdhsa_system_sgpr_workgroup_info 0
		.amdhsa_system_vgpr_workitem_id 0
		.amdhsa_next_free_vgpr 1
		.amdhsa_next_free_sgpr 0
		.amdhsa_accum_offset 4
		.amdhsa_reserve_vcc 0
		.amdhsa_reserve_flat_scratch 0
		.amdhsa_float_round_mode_32 0
		.amdhsa_float_round_mode_16_64 0
		.amdhsa_float_denorm_mode_32 3
		.amdhsa_float_denorm_mode_16_64 3
		.amdhsa_dx10_clamp 1
		.amdhsa_ieee_mode 1
		.amdhsa_fp16_overflow 0
		.amdhsa_tg_split 0
		.amdhsa_exception_fp_ieee_invalid_op 0
		.amdhsa_exception_fp_denorm_src 0
		.amdhsa_exception_fp_ieee_div_zero 0
		.amdhsa_exception_fp_ieee_overflow 0
		.amdhsa_exception_fp_ieee_underflow 0
		.amdhsa_exception_fp_ieee_inexact 0
		.amdhsa_exception_int_div_zero 0
	.end_amdhsa_kernel
	.section	.text._ZN7rocprim17ROCPRIM_400000_NS6detail17trampoline_kernelINS0_14default_configENS1_27scan_by_key_config_selectorImiEEZZNS1_16scan_by_key_implILNS1_25lookback_scan_determinismE0ELb0ES3_N6thrust23THRUST_200600_302600_NS18transform_iteratorI9row_indexNS9_17counting_iteratorImNS9_11use_defaultESD_SD_EESD_SD_EENS9_6detail15normal_iteratorINS9_10device_ptrIiEEEESK_iNS9_4plusIvEENS9_8equal_toIvEEiEE10hipError_tPvRmT2_T3_T4_T5_mT6_T7_P12ihipStream_tbENKUlT_T0_E_clISt17integral_constantIbLb1EES14_IbLb0EEEEDaS10_S11_EUlS10_E_NS1_11comp_targetILNS1_3genE10ELNS1_11target_archE1201ELNS1_3gpuE5ELNS1_3repE0EEENS1_30default_config_static_selectorELNS0_4arch9wavefront6targetE1EEEvT1_,"axG",@progbits,_ZN7rocprim17ROCPRIM_400000_NS6detail17trampoline_kernelINS0_14default_configENS1_27scan_by_key_config_selectorImiEEZZNS1_16scan_by_key_implILNS1_25lookback_scan_determinismE0ELb0ES3_N6thrust23THRUST_200600_302600_NS18transform_iteratorI9row_indexNS9_17counting_iteratorImNS9_11use_defaultESD_SD_EESD_SD_EENS9_6detail15normal_iteratorINS9_10device_ptrIiEEEESK_iNS9_4plusIvEENS9_8equal_toIvEEiEE10hipError_tPvRmT2_T3_T4_T5_mT6_T7_P12ihipStream_tbENKUlT_T0_E_clISt17integral_constantIbLb1EES14_IbLb0EEEEDaS10_S11_EUlS10_E_NS1_11comp_targetILNS1_3genE10ELNS1_11target_archE1201ELNS1_3gpuE5ELNS1_3repE0EEENS1_30default_config_static_selectorELNS0_4arch9wavefront6targetE1EEEvT1_,comdat
.Lfunc_end26:
	.size	_ZN7rocprim17ROCPRIM_400000_NS6detail17trampoline_kernelINS0_14default_configENS1_27scan_by_key_config_selectorImiEEZZNS1_16scan_by_key_implILNS1_25lookback_scan_determinismE0ELb0ES3_N6thrust23THRUST_200600_302600_NS18transform_iteratorI9row_indexNS9_17counting_iteratorImNS9_11use_defaultESD_SD_EESD_SD_EENS9_6detail15normal_iteratorINS9_10device_ptrIiEEEESK_iNS9_4plusIvEENS9_8equal_toIvEEiEE10hipError_tPvRmT2_T3_T4_T5_mT6_T7_P12ihipStream_tbENKUlT_T0_E_clISt17integral_constantIbLb1EES14_IbLb0EEEEDaS10_S11_EUlS10_E_NS1_11comp_targetILNS1_3genE10ELNS1_11target_archE1201ELNS1_3gpuE5ELNS1_3repE0EEENS1_30default_config_static_selectorELNS0_4arch9wavefront6targetE1EEEvT1_, .Lfunc_end26-_ZN7rocprim17ROCPRIM_400000_NS6detail17trampoline_kernelINS0_14default_configENS1_27scan_by_key_config_selectorImiEEZZNS1_16scan_by_key_implILNS1_25lookback_scan_determinismE0ELb0ES3_N6thrust23THRUST_200600_302600_NS18transform_iteratorI9row_indexNS9_17counting_iteratorImNS9_11use_defaultESD_SD_EESD_SD_EENS9_6detail15normal_iteratorINS9_10device_ptrIiEEEESK_iNS9_4plusIvEENS9_8equal_toIvEEiEE10hipError_tPvRmT2_T3_T4_T5_mT6_T7_P12ihipStream_tbENKUlT_T0_E_clISt17integral_constantIbLb1EES14_IbLb0EEEEDaS10_S11_EUlS10_E_NS1_11comp_targetILNS1_3genE10ELNS1_11target_archE1201ELNS1_3gpuE5ELNS1_3repE0EEENS1_30default_config_static_selectorELNS0_4arch9wavefront6targetE1EEEvT1_
                                        ; -- End function
	.section	.AMDGPU.csdata,"",@progbits
; Kernel info:
; codeLenInByte = 0
; NumSgprs: 4
; NumVgprs: 0
; NumAgprs: 0
; TotalNumVgprs: 0
; ScratchSize: 0
; MemoryBound: 0
; FloatMode: 240
; IeeeMode: 1
; LDSByteSize: 0 bytes/workgroup (compile time only)
; SGPRBlocks: 0
; VGPRBlocks: 0
; NumSGPRsForWavesPerEU: 4
; NumVGPRsForWavesPerEU: 1
; AccumOffset: 4
; Occupancy: 8
; WaveLimiterHint : 0
; COMPUTE_PGM_RSRC2:SCRATCH_EN: 0
; COMPUTE_PGM_RSRC2:USER_SGPR: 6
; COMPUTE_PGM_RSRC2:TRAP_HANDLER: 0
; COMPUTE_PGM_RSRC2:TGID_X_EN: 1
; COMPUTE_PGM_RSRC2:TGID_Y_EN: 0
; COMPUTE_PGM_RSRC2:TGID_Z_EN: 0
; COMPUTE_PGM_RSRC2:TIDIG_COMP_CNT: 0
; COMPUTE_PGM_RSRC3_GFX90A:ACCUM_OFFSET: 0
; COMPUTE_PGM_RSRC3_GFX90A:TG_SPLIT: 0
	.section	.text._ZN7rocprim17ROCPRIM_400000_NS6detail17trampoline_kernelINS0_14default_configENS1_27scan_by_key_config_selectorImiEEZZNS1_16scan_by_key_implILNS1_25lookback_scan_determinismE0ELb0ES3_N6thrust23THRUST_200600_302600_NS18transform_iteratorI9row_indexNS9_17counting_iteratorImNS9_11use_defaultESD_SD_EESD_SD_EENS9_6detail15normal_iteratorINS9_10device_ptrIiEEEESK_iNS9_4plusIvEENS9_8equal_toIvEEiEE10hipError_tPvRmT2_T3_T4_T5_mT6_T7_P12ihipStream_tbENKUlT_T0_E_clISt17integral_constantIbLb1EES14_IbLb0EEEEDaS10_S11_EUlS10_E_NS1_11comp_targetILNS1_3genE5ELNS1_11target_archE942ELNS1_3gpuE9ELNS1_3repE0EEENS1_30default_config_static_selectorELNS0_4arch9wavefront6targetE1EEEvT1_,"axG",@progbits,_ZN7rocprim17ROCPRIM_400000_NS6detail17trampoline_kernelINS0_14default_configENS1_27scan_by_key_config_selectorImiEEZZNS1_16scan_by_key_implILNS1_25lookback_scan_determinismE0ELb0ES3_N6thrust23THRUST_200600_302600_NS18transform_iteratorI9row_indexNS9_17counting_iteratorImNS9_11use_defaultESD_SD_EESD_SD_EENS9_6detail15normal_iteratorINS9_10device_ptrIiEEEESK_iNS9_4plusIvEENS9_8equal_toIvEEiEE10hipError_tPvRmT2_T3_T4_T5_mT6_T7_P12ihipStream_tbENKUlT_T0_E_clISt17integral_constantIbLb1EES14_IbLb0EEEEDaS10_S11_EUlS10_E_NS1_11comp_targetILNS1_3genE5ELNS1_11target_archE942ELNS1_3gpuE9ELNS1_3repE0EEENS1_30default_config_static_selectorELNS0_4arch9wavefront6targetE1EEEvT1_,comdat
	.protected	_ZN7rocprim17ROCPRIM_400000_NS6detail17trampoline_kernelINS0_14default_configENS1_27scan_by_key_config_selectorImiEEZZNS1_16scan_by_key_implILNS1_25lookback_scan_determinismE0ELb0ES3_N6thrust23THRUST_200600_302600_NS18transform_iteratorI9row_indexNS9_17counting_iteratorImNS9_11use_defaultESD_SD_EESD_SD_EENS9_6detail15normal_iteratorINS9_10device_ptrIiEEEESK_iNS9_4plusIvEENS9_8equal_toIvEEiEE10hipError_tPvRmT2_T3_T4_T5_mT6_T7_P12ihipStream_tbENKUlT_T0_E_clISt17integral_constantIbLb1EES14_IbLb0EEEEDaS10_S11_EUlS10_E_NS1_11comp_targetILNS1_3genE5ELNS1_11target_archE942ELNS1_3gpuE9ELNS1_3repE0EEENS1_30default_config_static_selectorELNS0_4arch9wavefront6targetE1EEEvT1_ ; -- Begin function _ZN7rocprim17ROCPRIM_400000_NS6detail17trampoline_kernelINS0_14default_configENS1_27scan_by_key_config_selectorImiEEZZNS1_16scan_by_key_implILNS1_25lookback_scan_determinismE0ELb0ES3_N6thrust23THRUST_200600_302600_NS18transform_iteratorI9row_indexNS9_17counting_iteratorImNS9_11use_defaultESD_SD_EESD_SD_EENS9_6detail15normal_iteratorINS9_10device_ptrIiEEEESK_iNS9_4plusIvEENS9_8equal_toIvEEiEE10hipError_tPvRmT2_T3_T4_T5_mT6_T7_P12ihipStream_tbENKUlT_T0_E_clISt17integral_constantIbLb1EES14_IbLb0EEEEDaS10_S11_EUlS10_E_NS1_11comp_targetILNS1_3genE5ELNS1_11target_archE942ELNS1_3gpuE9ELNS1_3repE0EEENS1_30default_config_static_selectorELNS0_4arch9wavefront6targetE1EEEvT1_
	.globl	_ZN7rocprim17ROCPRIM_400000_NS6detail17trampoline_kernelINS0_14default_configENS1_27scan_by_key_config_selectorImiEEZZNS1_16scan_by_key_implILNS1_25lookback_scan_determinismE0ELb0ES3_N6thrust23THRUST_200600_302600_NS18transform_iteratorI9row_indexNS9_17counting_iteratorImNS9_11use_defaultESD_SD_EESD_SD_EENS9_6detail15normal_iteratorINS9_10device_ptrIiEEEESK_iNS9_4plusIvEENS9_8equal_toIvEEiEE10hipError_tPvRmT2_T3_T4_T5_mT6_T7_P12ihipStream_tbENKUlT_T0_E_clISt17integral_constantIbLb1EES14_IbLb0EEEEDaS10_S11_EUlS10_E_NS1_11comp_targetILNS1_3genE5ELNS1_11target_archE942ELNS1_3gpuE9ELNS1_3repE0EEENS1_30default_config_static_selectorELNS0_4arch9wavefront6targetE1EEEvT1_
	.p2align	8
	.type	_ZN7rocprim17ROCPRIM_400000_NS6detail17trampoline_kernelINS0_14default_configENS1_27scan_by_key_config_selectorImiEEZZNS1_16scan_by_key_implILNS1_25lookback_scan_determinismE0ELb0ES3_N6thrust23THRUST_200600_302600_NS18transform_iteratorI9row_indexNS9_17counting_iteratorImNS9_11use_defaultESD_SD_EESD_SD_EENS9_6detail15normal_iteratorINS9_10device_ptrIiEEEESK_iNS9_4plusIvEENS9_8equal_toIvEEiEE10hipError_tPvRmT2_T3_T4_T5_mT6_T7_P12ihipStream_tbENKUlT_T0_E_clISt17integral_constantIbLb1EES14_IbLb0EEEEDaS10_S11_EUlS10_E_NS1_11comp_targetILNS1_3genE5ELNS1_11target_archE942ELNS1_3gpuE9ELNS1_3repE0EEENS1_30default_config_static_selectorELNS0_4arch9wavefront6targetE1EEEvT1_,@function
_ZN7rocprim17ROCPRIM_400000_NS6detail17trampoline_kernelINS0_14default_configENS1_27scan_by_key_config_selectorImiEEZZNS1_16scan_by_key_implILNS1_25lookback_scan_determinismE0ELb0ES3_N6thrust23THRUST_200600_302600_NS18transform_iteratorI9row_indexNS9_17counting_iteratorImNS9_11use_defaultESD_SD_EESD_SD_EENS9_6detail15normal_iteratorINS9_10device_ptrIiEEEESK_iNS9_4plusIvEENS9_8equal_toIvEEiEE10hipError_tPvRmT2_T3_T4_T5_mT6_T7_P12ihipStream_tbENKUlT_T0_E_clISt17integral_constantIbLb1EES14_IbLb0EEEEDaS10_S11_EUlS10_E_NS1_11comp_targetILNS1_3genE5ELNS1_11target_archE942ELNS1_3gpuE9ELNS1_3repE0EEENS1_30default_config_static_selectorELNS0_4arch9wavefront6targetE1EEEvT1_: ; @_ZN7rocprim17ROCPRIM_400000_NS6detail17trampoline_kernelINS0_14default_configENS1_27scan_by_key_config_selectorImiEEZZNS1_16scan_by_key_implILNS1_25lookback_scan_determinismE0ELb0ES3_N6thrust23THRUST_200600_302600_NS18transform_iteratorI9row_indexNS9_17counting_iteratorImNS9_11use_defaultESD_SD_EESD_SD_EENS9_6detail15normal_iteratorINS9_10device_ptrIiEEEESK_iNS9_4plusIvEENS9_8equal_toIvEEiEE10hipError_tPvRmT2_T3_T4_T5_mT6_T7_P12ihipStream_tbENKUlT_T0_E_clISt17integral_constantIbLb1EES14_IbLb0EEEEDaS10_S11_EUlS10_E_NS1_11comp_targetILNS1_3genE5ELNS1_11target_archE942ELNS1_3gpuE9ELNS1_3repE0EEENS1_30default_config_static_selectorELNS0_4arch9wavefront6targetE1EEEvT1_
; %bb.0:
	.section	.rodata,"a",@progbits
	.p2align	6, 0x0
	.amdhsa_kernel _ZN7rocprim17ROCPRIM_400000_NS6detail17trampoline_kernelINS0_14default_configENS1_27scan_by_key_config_selectorImiEEZZNS1_16scan_by_key_implILNS1_25lookback_scan_determinismE0ELb0ES3_N6thrust23THRUST_200600_302600_NS18transform_iteratorI9row_indexNS9_17counting_iteratorImNS9_11use_defaultESD_SD_EESD_SD_EENS9_6detail15normal_iteratorINS9_10device_ptrIiEEEESK_iNS9_4plusIvEENS9_8equal_toIvEEiEE10hipError_tPvRmT2_T3_T4_T5_mT6_T7_P12ihipStream_tbENKUlT_T0_E_clISt17integral_constantIbLb1EES14_IbLb0EEEEDaS10_S11_EUlS10_E_NS1_11comp_targetILNS1_3genE5ELNS1_11target_archE942ELNS1_3gpuE9ELNS1_3repE0EEENS1_30default_config_static_selectorELNS0_4arch9wavefront6targetE1EEEvT1_
		.amdhsa_group_segment_fixed_size 0
		.amdhsa_private_segment_fixed_size 0
		.amdhsa_kernarg_size 120
		.amdhsa_user_sgpr_count 6
		.amdhsa_user_sgpr_private_segment_buffer 1
		.amdhsa_user_sgpr_dispatch_ptr 0
		.amdhsa_user_sgpr_queue_ptr 0
		.amdhsa_user_sgpr_kernarg_segment_ptr 1
		.amdhsa_user_sgpr_dispatch_id 0
		.amdhsa_user_sgpr_flat_scratch_init 0
		.amdhsa_user_sgpr_kernarg_preload_length 0
		.amdhsa_user_sgpr_kernarg_preload_offset 0
		.amdhsa_user_sgpr_private_segment_size 0
		.amdhsa_uses_dynamic_stack 0
		.amdhsa_system_sgpr_private_segment_wavefront_offset 0
		.amdhsa_system_sgpr_workgroup_id_x 1
		.amdhsa_system_sgpr_workgroup_id_y 0
		.amdhsa_system_sgpr_workgroup_id_z 0
		.amdhsa_system_sgpr_workgroup_info 0
		.amdhsa_system_vgpr_workitem_id 0
		.amdhsa_next_free_vgpr 1
		.amdhsa_next_free_sgpr 0
		.amdhsa_accum_offset 4
		.amdhsa_reserve_vcc 0
		.amdhsa_reserve_flat_scratch 0
		.amdhsa_float_round_mode_32 0
		.amdhsa_float_round_mode_16_64 0
		.amdhsa_float_denorm_mode_32 3
		.amdhsa_float_denorm_mode_16_64 3
		.amdhsa_dx10_clamp 1
		.amdhsa_ieee_mode 1
		.amdhsa_fp16_overflow 0
		.amdhsa_tg_split 0
		.amdhsa_exception_fp_ieee_invalid_op 0
		.amdhsa_exception_fp_denorm_src 0
		.amdhsa_exception_fp_ieee_div_zero 0
		.amdhsa_exception_fp_ieee_overflow 0
		.amdhsa_exception_fp_ieee_underflow 0
		.amdhsa_exception_fp_ieee_inexact 0
		.amdhsa_exception_int_div_zero 0
	.end_amdhsa_kernel
	.section	.text._ZN7rocprim17ROCPRIM_400000_NS6detail17trampoline_kernelINS0_14default_configENS1_27scan_by_key_config_selectorImiEEZZNS1_16scan_by_key_implILNS1_25lookback_scan_determinismE0ELb0ES3_N6thrust23THRUST_200600_302600_NS18transform_iteratorI9row_indexNS9_17counting_iteratorImNS9_11use_defaultESD_SD_EESD_SD_EENS9_6detail15normal_iteratorINS9_10device_ptrIiEEEESK_iNS9_4plusIvEENS9_8equal_toIvEEiEE10hipError_tPvRmT2_T3_T4_T5_mT6_T7_P12ihipStream_tbENKUlT_T0_E_clISt17integral_constantIbLb1EES14_IbLb0EEEEDaS10_S11_EUlS10_E_NS1_11comp_targetILNS1_3genE5ELNS1_11target_archE942ELNS1_3gpuE9ELNS1_3repE0EEENS1_30default_config_static_selectorELNS0_4arch9wavefront6targetE1EEEvT1_,"axG",@progbits,_ZN7rocprim17ROCPRIM_400000_NS6detail17trampoline_kernelINS0_14default_configENS1_27scan_by_key_config_selectorImiEEZZNS1_16scan_by_key_implILNS1_25lookback_scan_determinismE0ELb0ES3_N6thrust23THRUST_200600_302600_NS18transform_iteratorI9row_indexNS9_17counting_iteratorImNS9_11use_defaultESD_SD_EESD_SD_EENS9_6detail15normal_iteratorINS9_10device_ptrIiEEEESK_iNS9_4plusIvEENS9_8equal_toIvEEiEE10hipError_tPvRmT2_T3_T4_T5_mT6_T7_P12ihipStream_tbENKUlT_T0_E_clISt17integral_constantIbLb1EES14_IbLb0EEEEDaS10_S11_EUlS10_E_NS1_11comp_targetILNS1_3genE5ELNS1_11target_archE942ELNS1_3gpuE9ELNS1_3repE0EEENS1_30default_config_static_selectorELNS0_4arch9wavefront6targetE1EEEvT1_,comdat
.Lfunc_end27:
	.size	_ZN7rocprim17ROCPRIM_400000_NS6detail17trampoline_kernelINS0_14default_configENS1_27scan_by_key_config_selectorImiEEZZNS1_16scan_by_key_implILNS1_25lookback_scan_determinismE0ELb0ES3_N6thrust23THRUST_200600_302600_NS18transform_iteratorI9row_indexNS9_17counting_iteratorImNS9_11use_defaultESD_SD_EESD_SD_EENS9_6detail15normal_iteratorINS9_10device_ptrIiEEEESK_iNS9_4plusIvEENS9_8equal_toIvEEiEE10hipError_tPvRmT2_T3_T4_T5_mT6_T7_P12ihipStream_tbENKUlT_T0_E_clISt17integral_constantIbLb1EES14_IbLb0EEEEDaS10_S11_EUlS10_E_NS1_11comp_targetILNS1_3genE5ELNS1_11target_archE942ELNS1_3gpuE9ELNS1_3repE0EEENS1_30default_config_static_selectorELNS0_4arch9wavefront6targetE1EEEvT1_, .Lfunc_end27-_ZN7rocprim17ROCPRIM_400000_NS6detail17trampoline_kernelINS0_14default_configENS1_27scan_by_key_config_selectorImiEEZZNS1_16scan_by_key_implILNS1_25lookback_scan_determinismE0ELb0ES3_N6thrust23THRUST_200600_302600_NS18transform_iteratorI9row_indexNS9_17counting_iteratorImNS9_11use_defaultESD_SD_EESD_SD_EENS9_6detail15normal_iteratorINS9_10device_ptrIiEEEESK_iNS9_4plusIvEENS9_8equal_toIvEEiEE10hipError_tPvRmT2_T3_T4_T5_mT6_T7_P12ihipStream_tbENKUlT_T0_E_clISt17integral_constantIbLb1EES14_IbLb0EEEEDaS10_S11_EUlS10_E_NS1_11comp_targetILNS1_3genE5ELNS1_11target_archE942ELNS1_3gpuE9ELNS1_3repE0EEENS1_30default_config_static_selectorELNS0_4arch9wavefront6targetE1EEEvT1_
                                        ; -- End function
	.section	.AMDGPU.csdata,"",@progbits
; Kernel info:
; codeLenInByte = 0
; NumSgprs: 4
; NumVgprs: 0
; NumAgprs: 0
; TotalNumVgprs: 0
; ScratchSize: 0
; MemoryBound: 0
; FloatMode: 240
; IeeeMode: 1
; LDSByteSize: 0 bytes/workgroup (compile time only)
; SGPRBlocks: 0
; VGPRBlocks: 0
; NumSGPRsForWavesPerEU: 4
; NumVGPRsForWavesPerEU: 1
; AccumOffset: 4
; Occupancy: 8
; WaveLimiterHint : 0
; COMPUTE_PGM_RSRC2:SCRATCH_EN: 0
; COMPUTE_PGM_RSRC2:USER_SGPR: 6
; COMPUTE_PGM_RSRC2:TRAP_HANDLER: 0
; COMPUTE_PGM_RSRC2:TGID_X_EN: 1
; COMPUTE_PGM_RSRC2:TGID_Y_EN: 0
; COMPUTE_PGM_RSRC2:TGID_Z_EN: 0
; COMPUTE_PGM_RSRC2:TIDIG_COMP_CNT: 0
; COMPUTE_PGM_RSRC3_GFX90A:ACCUM_OFFSET: 0
; COMPUTE_PGM_RSRC3_GFX90A:TG_SPLIT: 0
	.section	.text._ZN7rocprim17ROCPRIM_400000_NS6detail17trampoline_kernelINS0_14default_configENS1_27scan_by_key_config_selectorImiEEZZNS1_16scan_by_key_implILNS1_25lookback_scan_determinismE0ELb0ES3_N6thrust23THRUST_200600_302600_NS18transform_iteratorI9row_indexNS9_17counting_iteratorImNS9_11use_defaultESD_SD_EESD_SD_EENS9_6detail15normal_iteratorINS9_10device_ptrIiEEEESK_iNS9_4plusIvEENS9_8equal_toIvEEiEE10hipError_tPvRmT2_T3_T4_T5_mT6_T7_P12ihipStream_tbENKUlT_T0_E_clISt17integral_constantIbLb1EES14_IbLb0EEEEDaS10_S11_EUlS10_E_NS1_11comp_targetILNS1_3genE4ELNS1_11target_archE910ELNS1_3gpuE8ELNS1_3repE0EEENS1_30default_config_static_selectorELNS0_4arch9wavefront6targetE1EEEvT1_,"axG",@progbits,_ZN7rocprim17ROCPRIM_400000_NS6detail17trampoline_kernelINS0_14default_configENS1_27scan_by_key_config_selectorImiEEZZNS1_16scan_by_key_implILNS1_25lookback_scan_determinismE0ELb0ES3_N6thrust23THRUST_200600_302600_NS18transform_iteratorI9row_indexNS9_17counting_iteratorImNS9_11use_defaultESD_SD_EESD_SD_EENS9_6detail15normal_iteratorINS9_10device_ptrIiEEEESK_iNS9_4plusIvEENS9_8equal_toIvEEiEE10hipError_tPvRmT2_T3_T4_T5_mT6_T7_P12ihipStream_tbENKUlT_T0_E_clISt17integral_constantIbLb1EES14_IbLb0EEEEDaS10_S11_EUlS10_E_NS1_11comp_targetILNS1_3genE4ELNS1_11target_archE910ELNS1_3gpuE8ELNS1_3repE0EEENS1_30default_config_static_selectorELNS0_4arch9wavefront6targetE1EEEvT1_,comdat
	.protected	_ZN7rocprim17ROCPRIM_400000_NS6detail17trampoline_kernelINS0_14default_configENS1_27scan_by_key_config_selectorImiEEZZNS1_16scan_by_key_implILNS1_25lookback_scan_determinismE0ELb0ES3_N6thrust23THRUST_200600_302600_NS18transform_iteratorI9row_indexNS9_17counting_iteratorImNS9_11use_defaultESD_SD_EESD_SD_EENS9_6detail15normal_iteratorINS9_10device_ptrIiEEEESK_iNS9_4plusIvEENS9_8equal_toIvEEiEE10hipError_tPvRmT2_T3_T4_T5_mT6_T7_P12ihipStream_tbENKUlT_T0_E_clISt17integral_constantIbLb1EES14_IbLb0EEEEDaS10_S11_EUlS10_E_NS1_11comp_targetILNS1_3genE4ELNS1_11target_archE910ELNS1_3gpuE8ELNS1_3repE0EEENS1_30default_config_static_selectorELNS0_4arch9wavefront6targetE1EEEvT1_ ; -- Begin function _ZN7rocprim17ROCPRIM_400000_NS6detail17trampoline_kernelINS0_14default_configENS1_27scan_by_key_config_selectorImiEEZZNS1_16scan_by_key_implILNS1_25lookback_scan_determinismE0ELb0ES3_N6thrust23THRUST_200600_302600_NS18transform_iteratorI9row_indexNS9_17counting_iteratorImNS9_11use_defaultESD_SD_EESD_SD_EENS9_6detail15normal_iteratorINS9_10device_ptrIiEEEESK_iNS9_4plusIvEENS9_8equal_toIvEEiEE10hipError_tPvRmT2_T3_T4_T5_mT6_T7_P12ihipStream_tbENKUlT_T0_E_clISt17integral_constantIbLb1EES14_IbLb0EEEEDaS10_S11_EUlS10_E_NS1_11comp_targetILNS1_3genE4ELNS1_11target_archE910ELNS1_3gpuE8ELNS1_3repE0EEENS1_30default_config_static_selectorELNS0_4arch9wavefront6targetE1EEEvT1_
	.globl	_ZN7rocprim17ROCPRIM_400000_NS6detail17trampoline_kernelINS0_14default_configENS1_27scan_by_key_config_selectorImiEEZZNS1_16scan_by_key_implILNS1_25lookback_scan_determinismE0ELb0ES3_N6thrust23THRUST_200600_302600_NS18transform_iteratorI9row_indexNS9_17counting_iteratorImNS9_11use_defaultESD_SD_EESD_SD_EENS9_6detail15normal_iteratorINS9_10device_ptrIiEEEESK_iNS9_4plusIvEENS9_8equal_toIvEEiEE10hipError_tPvRmT2_T3_T4_T5_mT6_T7_P12ihipStream_tbENKUlT_T0_E_clISt17integral_constantIbLb1EES14_IbLb0EEEEDaS10_S11_EUlS10_E_NS1_11comp_targetILNS1_3genE4ELNS1_11target_archE910ELNS1_3gpuE8ELNS1_3repE0EEENS1_30default_config_static_selectorELNS0_4arch9wavefront6targetE1EEEvT1_
	.p2align	8
	.type	_ZN7rocprim17ROCPRIM_400000_NS6detail17trampoline_kernelINS0_14default_configENS1_27scan_by_key_config_selectorImiEEZZNS1_16scan_by_key_implILNS1_25lookback_scan_determinismE0ELb0ES3_N6thrust23THRUST_200600_302600_NS18transform_iteratorI9row_indexNS9_17counting_iteratorImNS9_11use_defaultESD_SD_EESD_SD_EENS9_6detail15normal_iteratorINS9_10device_ptrIiEEEESK_iNS9_4plusIvEENS9_8equal_toIvEEiEE10hipError_tPvRmT2_T3_T4_T5_mT6_T7_P12ihipStream_tbENKUlT_T0_E_clISt17integral_constantIbLb1EES14_IbLb0EEEEDaS10_S11_EUlS10_E_NS1_11comp_targetILNS1_3genE4ELNS1_11target_archE910ELNS1_3gpuE8ELNS1_3repE0EEENS1_30default_config_static_selectorELNS0_4arch9wavefront6targetE1EEEvT1_,@function
_ZN7rocprim17ROCPRIM_400000_NS6detail17trampoline_kernelINS0_14default_configENS1_27scan_by_key_config_selectorImiEEZZNS1_16scan_by_key_implILNS1_25lookback_scan_determinismE0ELb0ES3_N6thrust23THRUST_200600_302600_NS18transform_iteratorI9row_indexNS9_17counting_iteratorImNS9_11use_defaultESD_SD_EESD_SD_EENS9_6detail15normal_iteratorINS9_10device_ptrIiEEEESK_iNS9_4plusIvEENS9_8equal_toIvEEiEE10hipError_tPvRmT2_T3_T4_T5_mT6_T7_P12ihipStream_tbENKUlT_T0_E_clISt17integral_constantIbLb1EES14_IbLb0EEEEDaS10_S11_EUlS10_E_NS1_11comp_targetILNS1_3genE4ELNS1_11target_archE910ELNS1_3gpuE8ELNS1_3repE0EEENS1_30default_config_static_selectorELNS0_4arch9wavefront6targetE1EEEvT1_: ; @_ZN7rocprim17ROCPRIM_400000_NS6detail17trampoline_kernelINS0_14default_configENS1_27scan_by_key_config_selectorImiEEZZNS1_16scan_by_key_implILNS1_25lookback_scan_determinismE0ELb0ES3_N6thrust23THRUST_200600_302600_NS18transform_iteratorI9row_indexNS9_17counting_iteratorImNS9_11use_defaultESD_SD_EESD_SD_EENS9_6detail15normal_iteratorINS9_10device_ptrIiEEEESK_iNS9_4plusIvEENS9_8equal_toIvEEiEE10hipError_tPvRmT2_T3_T4_T5_mT6_T7_P12ihipStream_tbENKUlT_T0_E_clISt17integral_constantIbLb1EES14_IbLb0EEEEDaS10_S11_EUlS10_E_NS1_11comp_targetILNS1_3genE4ELNS1_11target_archE910ELNS1_3gpuE8ELNS1_3repE0EEENS1_30default_config_static_selectorELNS0_4arch9wavefront6targetE1EEEvT1_
; %bb.0:
	s_load_dwordx8 s[44:51], s[4:5], 0x0
	s_load_dwordx4 s[52:55], s[4:5], 0x30
	s_load_dwordx2 s[58:59], s[4:5], 0x40
	s_load_dword s0, s[4:5], 0x48
	s_load_dwordx8 s[36:43], s[4:5], 0x50
	s_waitcnt lgkmcnt(0)
	s_lshl_b64 s[56:57], s[48:49], 2
	s_add_u32 s3, s50, s56
	s_addc_u32 s8, s51, s57
	s_mul_i32 s1, s59, s0
	s_mul_hi_u32 s2, s58, s0
	s_add_i32 s9, s2, s1
	s_mul_i32 s10, s58, s0
	s_cmp_lg_u64 s[40:41], 0
	s_mul_i32 s0, s6, 0xe00
	s_cselect_b64 s[50:51], -1, 0
	s_add_u32 s7, s44, s0
	s_mov_b32 s2, 0
	s_addc_u32 s11, s45, 0
	s_mov_b32 s1, s2
	s_add_u32 s44, s7, s48
	s_addc_u32 s45, s11, s49
	s_lshl_b64 s[40:41], s[0:1], 2
	s_add_u32 s7, s3, s40
	s_addc_u32 s55, s8, s41
	s_add_u32 s48, s10, s6
	s_addc_u32 s49, s9, 0
	s_add_u32 s8, s36, -1
	s_addc_u32 s9, s37, -1
	v_pk_mov_b32 v[2:3], s[8:9], s[8:9] op_sel:[0,1]
	v_cmp_ge_u64_e64 s[0:1], s[48:49], v[2:3]
	s_mov_b64 s[20:21], 0
	s_mov_b64 s[16:17], -1
	s_and_b64 vcc, exec, s[0:1]
	s_mul_i32 s33, s8, 0xfffff200
	s_barrier
	s_cbranch_vccz .LBB28_91
; %bb.1:
	s_or_b64 s[8:9], s[44:45], s[46:47]
	s_mov_b32 s3, s9
	s_cmp_lg_u64 s[2:3], 0
	s_cbranch_scc0 .LBB28_92
; %bb.2:
	v_cvt_f32_u32_e32 v1, s46
	v_cvt_f32_u32_e32 v2, s47
	s_sub_u32 s2, 0, s46
	s_subb_u32 s3, 0, s47
	v_madmk_f32 v1, v2, 0x4f800000, v1
	v_rcp_f32_e32 v1, v1
	v_mul_f32_e32 v1, 0x5f7ffffc, v1
	v_mul_f32_e32 v2, 0x2f800000, v1
	v_trunc_f32_e32 v2, v2
	v_madmk_f32 v1, v2, 0xcf800000, v1
	v_cvt_u32_f32_e32 v2, v2
	v_cvt_u32_f32_e32 v1, v1
	v_readfirstlane_b32 s10, v2
	v_readfirstlane_b32 s11, v1
	s_mul_i32 s12, s2, s10
	s_mul_hi_u32 s14, s2, s11
	s_mul_i32 s13, s3, s11
	s_add_i32 s12, s14, s12
	s_add_i32 s12, s12, s13
	s_mul_i32 s15, s2, s11
	s_mul_hi_u32 s13, s11, s12
	s_mul_i32 s14, s11, s12
	s_mul_hi_u32 s11, s11, s15
	s_add_u32 s11, s11, s14
	s_addc_u32 s13, 0, s13
	s_mul_hi_u32 s16, s10, s15
	s_mul_i32 s15, s10, s15
	s_add_u32 s11, s11, s15
	s_mul_hi_u32 s14, s10, s12
	s_addc_u32 s11, s13, s16
	s_addc_u32 s13, s14, 0
	s_mul_i32 s12, s10, s12
	s_add_u32 s11, s11, s12
	s_addc_u32 s12, 0, s13
	v_add_co_u32_e32 v1, vcc, s11, v1
	s_cmp_lg_u64 vcc, 0
	s_addc_u32 s10, s10, s12
	v_readfirstlane_b32 s12, v1
	s_mul_i32 s11, s2, s10
	s_mul_hi_u32 s13, s2, s12
	s_add_i32 s11, s13, s11
	s_mul_i32 s3, s3, s12
	s_add_i32 s11, s11, s3
	s_mul_i32 s2, s2, s12
	s_mul_hi_u32 s13, s10, s2
	s_mul_i32 s14, s10, s2
	s_mul_i32 s16, s12, s11
	s_mul_hi_u32 s2, s12, s2
	s_mul_hi_u32 s15, s12, s11
	s_add_u32 s2, s2, s16
	s_addc_u32 s12, 0, s15
	s_add_u32 s2, s2, s14
	s_mul_hi_u32 s3, s10, s11
	s_addc_u32 s2, s12, s13
	s_addc_u32 s3, s3, 0
	s_mul_i32 s11, s10, s11
	s_add_u32 s2, s2, s11
	s_addc_u32 s3, 0, s3
	v_add_co_u32_e32 v1, vcc, s2, v1
	s_cmp_lg_u64 vcc, 0
	s_addc_u32 s2, s10, s3
	v_readfirstlane_b32 s11, v1
	s_mul_i32 s10, s44, s2
	s_mul_hi_u32 s12, s44, s11
	s_mul_hi_u32 s3, s44, s2
	s_add_u32 s10, s12, s10
	s_addc_u32 s3, 0, s3
	s_mul_hi_u32 s13, s45, s11
	s_mul_i32 s11, s45, s11
	s_add_u32 s10, s10, s11
	s_mul_hi_u32 s12, s45, s2
	s_addc_u32 s3, s3, s13
	s_addc_u32 s10, s12, 0
	s_mul_i32 s2, s45, s2
	s_add_u32 s11, s3, s2
	s_addc_u32 s10, 0, s10
	s_mul_i32 s2, s46, s10
	s_mul_hi_u32 s3, s46, s11
	s_add_i32 s2, s3, s2
	s_mul_i32 s3, s47, s11
	s_add_i32 s12, s2, s3
	s_mul_i32 s3, s46, s11
	v_mov_b32_e32 v1, s3
	s_sub_i32 s2, s45, s12
	v_sub_co_u32_e32 v1, vcc, s44, v1
	s_cmp_lg_u64 vcc, 0
	s_subb_u32 s13, s2, s47
	v_subrev_co_u32_e64 v2, s[2:3], s46, v1
	s_cmp_lg_u64 s[2:3], 0
	s_subb_u32 s13, s13, 0
	s_cmp_ge_u32 s13, s47
	s_cselect_b32 s14, -1, 0
	v_cmp_le_u32_e64 s[2:3], s46, v2
	s_cmp_eq_u32 s13, s47
	v_cndmask_b32_e64 v2, 0, -1, s[2:3]
	v_mov_b32_e32 v3, s14
	s_cselect_b64 s[2:3], -1, 0
	v_cndmask_b32_e64 v2, v3, v2, s[2:3]
	s_add_u32 s2, s11, 1
	s_addc_u32 s13, s10, 0
	s_add_u32 s3, s11, 2
	s_addc_u32 s14, s10, 0
	v_mov_b32_e32 v3, s2
	v_mov_b32_e32 v4, s3
	v_cmp_ne_u32_e64 s[2:3], 0, v2
	v_cndmask_b32_e64 v2, v3, v4, s[2:3]
	v_mov_b32_e32 v3, s13
	v_mov_b32_e32 v4, s14
	s_cmp_lg_u64 vcc, 0
	v_cndmask_b32_e64 v3, v3, v4, s[2:3]
	s_subb_u32 s2, s45, s12
	s_cmp_ge_u32 s2, s47
	s_cselect_b32 s3, -1, 0
	v_cmp_le_u32_e32 vcc, s46, v1
	s_cmp_eq_u32 s2, s47
	v_cndmask_b32_e64 v1, 0, -1, vcc
	v_mov_b32_e32 v4, s3
	s_cselect_b64 vcc, -1, 0
	v_cndmask_b32_e32 v1, v4, v1, vcc
	v_mov_b32_e32 v4, s10
	v_cmp_ne_u32_e32 vcc, 0, v1
	v_mov_b32_e32 v1, s11
	v_cndmask_b32_e32 v55, v4, v3, vcc
	v_cndmask_b32_e32 v54, v1, v2, vcc
	s_cbranch_execnz .LBB28_4
.LBB28_3:
	v_cvt_f32_u32_e32 v1, s46
	s_sub_i32 s2, 0, s46
	s_mov_b32 s3, 0
	v_rcp_iflag_f32_e32 v1, v1
	v_mul_f32_e32 v1, 0x4f7ffffe, v1
	v_cvt_u32_f32_e32 v1, v1
	v_readfirstlane_b32 s8, v1
	s_mul_i32 s2, s2, s8
	s_mul_hi_u32 s2, s8, s2
	s_add_i32 s8, s8, s2
	s_mul_hi_u32 s2, s44, s8
	s_mul_i32 s9, s2, s46
	s_sub_i32 s9, s44, s9
	s_add_i32 s8, s2, 1
	s_sub_i32 s10, s9, s46
	s_cmp_ge_u32 s9, s46
	s_cselect_b32 s2, s8, s2
	s_cselect_b32 s9, s10, s9
	s_add_i32 s8, s2, 1
	s_cmp_ge_u32 s9, s46
	s_cselect_b32 s2, s8, s2
	v_pk_mov_b32 v[54:55], s[2:3], s[2:3] op_sel:[0,1]
.LBB28_4:
	s_add_i32 s64, s33, s54
	v_cmp_gt_u32_e64 s[2:3], s64, v0
	v_pk_mov_b32 v[2:3], v[54:55], v[54:55] op_sel:[0,1]
	s_and_saveexec_b64 s[10:11], s[2:3]
	s_cbranch_execz .LBB28_10
; %bb.5:
	v_mov_b32_e32 v3, s45
	v_add_co_u32_e32 v1, vcc, s44, v0
	v_addc_co_u32_e32 v4, vcc, 0, v3, vcc
	v_mov_b32_e32 v2, 0
	v_or_b32_e32 v3, s47, v4
	v_cmp_ne_u64_e32 vcc, 0, v[2:3]
                                        ; implicit-def: $vgpr2_vgpr3
	s_and_saveexec_b64 s[8:9], vcc
	s_xor_b64 s[12:13], exec, s[8:9]
	s_cbranch_execz .LBB28_7
; %bb.6:
	v_cvt_f32_u32_e32 v2, s46
	v_cvt_f32_u32_e32 v3, s47
	s_sub_u32 s8, 0, s46
	s_subb_u32 s9, 0, s47
	v_madmk_f32 v2, v3, 0x4f800000, v2
	v_rcp_f32_e32 v2, v2
	v_mul_f32_e32 v2, 0x5f7ffffc, v2
	v_mul_f32_e32 v3, 0x2f800000, v2
	v_trunc_f32_e32 v3, v3
	v_madmk_f32 v2, v3, 0xcf800000, v2
	v_cvt_u32_f32_e32 v3, v3
	v_cvt_u32_f32_e32 v2, v2
	v_mul_lo_u32 v5, s8, v3
	v_mul_hi_u32 v7, s8, v2
	v_mul_lo_u32 v6, s9, v2
	v_add_u32_e32 v5, v7, v5
	v_mul_lo_u32 v8, s8, v2
	v_add_u32_e32 v5, v5, v6
	v_mul_hi_u32 v7, v2, v8
	v_mul_lo_u32 v9, v2, v5
	v_mul_hi_u32 v6, v2, v5
	v_add_co_u32_e32 v7, vcc, v7, v9
	v_addc_co_u32_e32 v6, vcc, 0, v6, vcc
	v_mul_hi_u32 v10, v3, v8
	v_mul_lo_u32 v8, v3, v8
	v_add_co_u32_e32 v7, vcc, v7, v8
	v_mul_hi_u32 v9, v3, v5
	v_addc_co_u32_e32 v6, vcc, v6, v10, vcc
	v_addc_co_u32_e32 v7, vcc, 0, v9, vcc
	v_mul_lo_u32 v5, v3, v5
	v_add_co_u32_e32 v5, vcc, v6, v5
	v_addc_co_u32_e32 v6, vcc, 0, v7, vcc
	v_add_co_u32_e32 v2, vcc, v2, v5
	v_addc_co_u32_e32 v3, vcc, v3, v6, vcc
	v_mul_lo_u32 v5, s8, v3
	v_mul_hi_u32 v6, s8, v2
	v_add_u32_e32 v5, v6, v5
	v_mul_lo_u32 v6, s9, v2
	v_add_u32_e32 v5, v5, v6
	v_mul_lo_u32 v7, s8, v2
	v_mul_hi_u32 v8, v3, v7
	v_mul_lo_u32 v9, v3, v7
	v_mul_lo_u32 v11, v2, v5
	v_mul_hi_u32 v7, v2, v7
	v_mul_hi_u32 v10, v2, v5
	v_add_co_u32_e32 v7, vcc, v7, v11
	v_addc_co_u32_e32 v10, vcc, 0, v10, vcc
	v_add_co_u32_e32 v7, vcc, v7, v9
	v_mul_hi_u32 v6, v3, v5
	v_addc_co_u32_e32 v7, vcc, v10, v8, vcc
	v_addc_co_u32_e32 v6, vcc, 0, v6, vcc
	v_mul_lo_u32 v5, v3, v5
	v_add_co_u32_e32 v5, vcc, v7, v5
	v_addc_co_u32_e32 v6, vcc, 0, v6, vcc
	v_add_co_u32_e32 v5, vcc, v2, v5
	v_addc_co_u32_e32 v6, vcc, v3, v6, vcc
	v_mad_u64_u32 v[2:3], s[8:9], v1, v6, 0
	v_mul_hi_u32 v7, v1, v5
	v_add_co_u32_e32 v8, vcc, v7, v2
	v_addc_co_u32_e32 v9, vcc, 0, v3, vcc
	v_mad_u64_u32 v[2:3], s[8:9], v4, v6, 0
	v_mad_u64_u32 v[6:7], s[8:9], v4, v5, 0
	v_add_co_u32_e32 v5, vcc, v8, v6
	v_addc_co_u32_e32 v5, vcc, v9, v7, vcc
	v_addc_co_u32_e32 v3, vcc, 0, v3, vcc
	v_add_co_u32_e32 v5, vcc, v5, v2
	v_addc_co_u32_e32 v6, vcc, 0, v3, vcc
	v_mul_lo_u32 v7, s47, v5
	v_mul_lo_u32 v8, s46, v6
	v_mad_u64_u32 v[2:3], s[8:9], s46, v5, 0
	v_add3_u32 v3, v3, v8, v7
	v_sub_u32_e32 v7, v4, v3
	v_mov_b32_e32 v8, s47
	v_sub_co_u32_e32 v1, vcc, v1, v2
	v_subb_co_u32_e64 v2, s[8:9], v7, v8, vcc
	v_subrev_co_u32_e64 v7, s[8:9], s46, v1
	v_subbrev_co_u32_e64 v2, s[8:9], 0, v2, s[8:9]
	v_cmp_le_u32_e64 s[8:9], s47, v2
	v_cndmask_b32_e64 v8, 0, -1, s[8:9]
	v_cmp_le_u32_e64 s[8:9], s46, v7
	v_cndmask_b32_e64 v7, 0, -1, s[8:9]
	v_cmp_eq_u32_e64 s[8:9], s47, v2
	v_cndmask_b32_e64 v2, v8, v7, s[8:9]
	v_add_co_u32_e64 v7, s[8:9], 2, v5
	v_subb_co_u32_e32 v3, vcc, v4, v3, vcc
	v_addc_co_u32_e64 v8, s[8:9], 0, v6, s[8:9]
	v_cmp_le_u32_e32 vcc, s47, v3
	v_add_co_u32_e64 v9, s[8:9], 1, v5
	v_cndmask_b32_e64 v4, 0, -1, vcc
	v_cmp_le_u32_e32 vcc, s46, v1
	v_addc_co_u32_e64 v10, s[8:9], 0, v6, s[8:9]
	v_cndmask_b32_e64 v1, 0, -1, vcc
	v_cmp_eq_u32_e32 vcc, s47, v3
	v_cmp_ne_u32_e64 s[8:9], 0, v2
	v_cndmask_b32_e32 v1, v4, v1, vcc
	v_cndmask_b32_e64 v2, v10, v8, s[8:9]
	v_cmp_ne_u32_e32 vcc, 0, v1
	v_cndmask_b32_e64 v1, v9, v7, s[8:9]
	v_cndmask_b32_e32 v3, v6, v2, vcc
	v_cndmask_b32_e32 v2, v5, v1, vcc
                                        ; implicit-def: $vgpr1
.LBB28_7:
	s_andn2_saveexec_b64 s[8:9], s[12:13]
	s_cbranch_execz .LBB28_9
; %bb.8:
	v_cvt_f32_u32_e32 v2, s46
	s_sub_i32 s12, 0, s46
	v_rcp_iflag_f32_e32 v2, v2
	v_mul_f32_e32 v2, 0x4f7ffffe, v2
	v_cvt_u32_f32_e32 v2, v2
	v_mul_lo_u32 v3, s12, v2
	v_mul_hi_u32 v3, v2, v3
	v_add_u32_e32 v2, v2, v3
	v_mul_hi_u32 v2, v1, v2
	v_mul_lo_u32 v3, v2, s46
	v_sub_u32_e32 v1, v1, v3
	v_add_u32_e32 v4, 1, v2
	v_subrev_u32_e32 v3, s46, v1
	v_cmp_le_u32_e32 vcc, s46, v1
	v_cndmask_b32_e32 v1, v1, v3, vcc
	v_cndmask_b32_e32 v2, v2, v4, vcc
	v_add_u32_e32 v3, 1, v2
	v_cmp_le_u32_e32 vcc, s46, v1
	v_cndmask_b32_e32 v2, v2, v3, vcc
	v_mov_b32_e32 v3, 0
.LBB28_9:
	s_or_b64 exec, exec, s[8:9]
.LBB28_10:
	s_or_b64 exec, exec, s[10:11]
	v_or_b32_e32 v1, 0x100, v0
	v_cmp_gt_u32_e64 s[34:35], s64, v1
	v_pk_mov_b32 v[4:5], v[54:55], v[54:55] op_sel:[0,1]
	s_and_saveexec_b64 s[10:11], s[34:35]
	s_cbranch_execz .LBB28_16
; %bb.11:
	v_mov_b32_e32 v5, s45
	v_add_co_u32_e32 v1, vcc, s44, v1
	v_addc_co_u32_e32 v6, vcc, 0, v5, vcc
	v_mov_b32_e32 v4, 0
	v_or_b32_e32 v5, s47, v6
	v_cmp_ne_u64_e32 vcc, 0, v[4:5]
                                        ; implicit-def: $vgpr4_vgpr5
	s_and_saveexec_b64 s[8:9], vcc
	s_xor_b64 s[12:13], exec, s[8:9]
	s_cbranch_execz .LBB28_13
; %bb.12:
	v_cvt_f32_u32_e32 v4, s46
	v_cvt_f32_u32_e32 v5, s47
	s_sub_u32 s8, 0, s46
	s_subb_u32 s9, 0, s47
	v_madmk_f32 v4, v5, 0x4f800000, v4
	v_rcp_f32_e32 v4, v4
	v_mul_f32_e32 v4, 0x5f7ffffc, v4
	v_mul_f32_e32 v5, 0x2f800000, v4
	v_trunc_f32_e32 v5, v5
	v_madmk_f32 v4, v5, 0xcf800000, v4
	v_cvt_u32_f32_e32 v5, v5
	v_cvt_u32_f32_e32 v4, v4
	v_mul_lo_u32 v7, s8, v5
	v_mul_hi_u32 v9, s8, v4
	v_mul_lo_u32 v8, s9, v4
	v_add_u32_e32 v7, v9, v7
	v_mul_lo_u32 v10, s8, v4
	v_add_u32_e32 v7, v7, v8
	v_mul_hi_u32 v9, v4, v10
	v_mul_lo_u32 v11, v4, v7
	v_mul_hi_u32 v8, v4, v7
	v_add_co_u32_e32 v9, vcc, v9, v11
	v_addc_co_u32_e32 v8, vcc, 0, v8, vcc
	v_mul_hi_u32 v12, v5, v10
	v_mul_lo_u32 v10, v5, v10
	v_add_co_u32_e32 v9, vcc, v9, v10
	v_mul_hi_u32 v11, v5, v7
	v_addc_co_u32_e32 v8, vcc, v8, v12, vcc
	v_addc_co_u32_e32 v9, vcc, 0, v11, vcc
	v_mul_lo_u32 v7, v5, v7
	v_add_co_u32_e32 v7, vcc, v8, v7
	v_addc_co_u32_e32 v8, vcc, 0, v9, vcc
	v_add_co_u32_e32 v4, vcc, v4, v7
	v_addc_co_u32_e32 v5, vcc, v5, v8, vcc
	v_mul_lo_u32 v7, s8, v5
	v_mul_hi_u32 v8, s8, v4
	v_add_u32_e32 v7, v8, v7
	v_mul_lo_u32 v8, s9, v4
	v_add_u32_e32 v7, v7, v8
	v_mul_lo_u32 v9, s8, v4
	v_mul_hi_u32 v10, v5, v9
	v_mul_lo_u32 v11, v5, v9
	v_mul_lo_u32 v13, v4, v7
	v_mul_hi_u32 v9, v4, v9
	v_mul_hi_u32 v12, v4, v7
	v_add_co_u32_e32 v9, vcc, v9, v13
	v_addc_co_u32_e32 v12, vcc, 0, v12, vcc
	v_add_co_u32_e32 v9, vcc, v9, v11
	v_mul_hi_u32 v8, v5, v7
	v_addc_co_u32_e32 v9, vcc, v12, v10, vcc
	v_addc_co_u32_e32 v8, vcc, 0, v8, vcc
	v_mul_lo_u32 v7, v5, v7
	v_add_co_u32_e32 v7, vcc, v9, v7
	v_addc_co_u32_e32 v8, vcc, 0, v8, vcc
	v_add_co_u32_e32 v7, vcc, v4, v7
	v_addc_co_u32_e32 v8, vcc, v5, v8, vcc
	v_mad_u64_u32 v[4:5], s[8:9], v1, v8, 0
	v_mul_hi_u32 v9, v1, v7
	v_add_co_u32_e32 v10, vcc, v9, v4
	v_addc_co_u32_e32 v11, vcc, 0, v5, vcc
	v_mad_u64_u32 v[4:5], s[8:9], v6, v8, 0
	v_mad_u64_u32 v[8:9], s[8:9], v6, v7, 0
	v_add_co_u32_e32 v7, vcc, v10, v8
	v_addc_co_u32_e32 v7, vcc, v11, v9, vcc
	v_addc_co_u32_e32 v5, vcc, 0, v5, vcc
	v_add_co_u32_e32 v7, vcc, v7, v4
	v_addc_co_u32_e32 v8, vcc, 0, v5, vcc
	v_mul_lo_u32 v9, s47, v7
	v_mul_lo_u32 v10, s46, v8
	v_mad_u64_u32 v[4:5], s[8:9], s46, v7, 0
	v_add3_u32 v5, v5, v10, v9
	v_sub_u32_e32 v9, v6, v5
	v_mov_b32_e32 v10, s47
	v_sub_co_u32_e32 v1, vcc, v1, v4
	v_subb_co_u32_e64 v4, s[8:9], v9, v10, vcc
	v_subrev_co_u32_e64 v9, s[8:9], s46, v1
	v_subbrev_co_u32_e64 v4, s[8:9], 0, v4, s[8:9]
	v_cmp_le_u32_e64 s[8:9], s47, v4
	v_cndmask_b32_e64 v10, 0, -1, s[8:9]
	v_cmp_le_u32_e64 s[8:9], s46, v9
	v_cndmask_b32_e64 v9, 0, -1, s[8:9]
	v_cmp_eq_u32_e64 s[8:9], s47, v4
	v_cndmask_b32_e64 v4, v10, v9, s[8:9]
	v_add_co_u32_e64 v9, s[8:9], 2, v7
	v_subb_co_u32_e32 v5, vcc, v6, v5, vcc
	v_addc_co_u32_e64 v10, s[8:9], 0, v8, s[8:9]
	v_cmp_le_u32_e32 vcc, s47, v5
	v_add_co_u32_e64 v11, s[8:9], 1, v7
	v_cndmask_b32_e64 v6, 0, -1, vcc
	v_cmp_le_u32_e32 vcc, s46, v1
	v_addc_co_u32_e64 v12, s[8:9], 0, v8, s[8:9]
	v_cndmask_b32_e64 v1, 0, -1, vcc
	v_cmp_eq_u32_e32 vcc, s47, v5
	v_cmp_ne_u32_e64 s[8:9], 0, v4
	v_cndmask_b32_e32 v1, v6, v1, vcc
	v_cndmask_b32_e64 v4, v12, v10, s[8:9]
	v_cmp_ne_u32_e32 vcc, 0, v1
	v_cndmask_b32_e64 v1, v11, v9, s[8:9]
	v_cndmask_b32_e32 v5, v8, v4, vcc
	v_cndmask_b32_e32 v4, v7, v1, vcc
                                        ; implicit-def: $vgpr1
.LBB28_13:
	s_andn2_saveexec_b64 s[8:9], s[12:13]
	s_cbranch_execz .LBB28_15
; %bb.14:
	v_cvt_f32_u32_e32 v4, s46
	s_sub_i32 s12, 0, s46
	v_rcp_iflag_f32_e32 v4, v4
	v_mul_f32_e32 v4, 0x4f7ffffe, v4
	v_cvt_u32_f32_e32 v4, v4
	v_mul_lo_u32 v5, s12, v4
	v_mul_hi_u32 v5, v4, v5
	v_add_u32_e32 v4, v4, v5
	v_mul_hi_u32 v4, v1, v4
	v_mul_lo_u32 v5, v4, s46
	v_sub_u32_e32 v1, v1, v5
	v_add_u32_e32 v6, 1, v4
	v_subrev_u32_e32 v5, s46, v1
	v_cmp_le_u32_e32 vcc, s46, v1
	v_cndmask_b32_e32 v1, v1, v5, vcc
	v_cndmask_b32_e32 v4, v4, v6, vcc
	v_add_u32_e32 v5, 1, v4
	v_cmp_le_u32_e32 vcc, s46, v1
	v_cndmask_b32_e32 v4, v4, v5, vcc
	v_mov_b32_e32 v5, 0
.LBB28_15:
	s_or_b64 exec, exec, s[8:9]
.LBB28_16:
	s_or_b64 exec, exec, s[10:11]
	v_or_b32_e32 v1, 0x200, v0
	v_cmp_gt_u32_e64 s[8:9], s64, v1
	v_pk_mov_b32 v[6:7], v[54:55], v[54:55] op_sel:[0,1]
	s_and_saveexec_b64 s[12:13], s[8:9]
	s_cbranch_execz .LBB28_22
; %bb.17:
	v_mov_b32_e32 v7, s45
	v_add_co_u32_e32 v1, vcc, s44, v1
	v_addc_co_u32_e32 v8, vcc, 0, v7, vcc
	v_mov_b32_e32 v6, 0
	v_or_b32_e32 v7, s47, v8
	v_cmp_ne_u64_e32 vcc, 0, v[6:7]
                                        ; implicit-def: $vgpr6_vgpr7
	s_and_saveexec_b64 s[10:11], vcc
	s_xor_b64 s[14:15], exec, s[10:11]
	s_cbranch_execz .LBB28_19
; %bb.18:
	v_cvt_f32_u32_e32 v6, s46
	v_cvt_f32_u32_e32 v7, s47
	s_sub_u32 s10, 0, s46
	s_subb_u32 s11, 0, s47
	v_madmk_f32 v6, v7, 0x4f800000, v6
	v_rcp_f32_e32 v6, v6
	v_mul_f32_e32 v6, 0x5f7ffffc, v6
	v_mul_f32_e32 v7, 0x2f800000, v6
	v_trunc_f32_e32 v7, v7
	v_madmk_f32 v6, v7, 0xcf800000, v6
	v_cvt_u32_f32_e32 v7, v7
	v_cvt_u32_f32_e32 v6, v6
	v_mul_lo_u32 v9, s10, v7
	v_mul_hi_u32 v11, s10, v6
	v_mul_lo_u32 v10, s11, v6
	v_add_u32_e32 v9, v11, v9
	v_mul_lo_u32 v12, s10, v6
	v_add_u32_e32 v9, v9, v10
	v_mul_hi_u32 v11, v6, v12
	v_mul_lo_u32 v13, v6, v9
	v_mul_hi_u32 v10, v6, v9
	v_add_co_u32_e32 v11, vcc, v11, v13
	v_addc_co_u32_e32 v10, vcc, 0, v10, vcc
	v_mul_hi_u32 v14, v7, v12
	v_mul_lo_u32 v12, v7, v12
	v_add_co_u32_e32 v11, vcc, v11, v12
	v_mul_hi_u32 v13, v7, v9
	v_addc_co_u32_e32 v10, vcc, v10, v14, vcc
	v_addc_co_u32_e32 v11, vcc, 0, v13, vcc
	v_mul_lo_u32 v9, v7, v9
	v_add_co_u32_e32 v9, vcc, v10, v9
	v_addc_co_u32_e32 v10, vcc, 0, v11, vcc
	v_add_co_u32_e32 v6, vcc, v6, v9
	v_addc_co_u32_e32 v7, vcc, v7, v10, vcc
	v_mul_lo_u32 v9, s10, v7
	v_mul_hi_u32 v10, s10, v6
	v_add_u32_e32 v9, v10, v9
	v_mul_lo_u32 v10, s11, v6
	v_add_u32_e32 v9, v9, v10
	v_mul_lo_u32 v11, s10, v6
	v_mul_hi_u32 v12, v7, v11
	v_mul_lo_u32 v13, v7, v11
	v_mul_lo_u32 v15, v6, v9
	v_mul_hi_u32 v11, v6, v11
	v_mul_hi_u32 v14, v6, v9
	v_add_co_u32_e32 v11, vcc, v11, v15
	v_addc_co_u32_e32 v14, vcc, 0, v14, vcc
	v_add_co_u32_e32 v11, vcc, v11, v13
	v_mul_hi_u32 v10, v7, v9
	v_addc_co_u32_e32 v11, vcc, v14, v12, vcc
	v_addc_co_u32_e32 v10, vcc, 0, v10, vcc
	v_mul_lo_u32 v9, v7, v9
	v_add_co_u32_e32 v9, vcc, v11, v9
	v_addc_co_u32_e32 v10, vcc, 0, v10, vcc
	v_add_co_u32_e32 v9, vcc, v6, v9
	v_addc_co_u32_e32 v10, vcc, v7, v10, vcc
	v_mad_u64_u32 v[6:7], s[10:11], v1, v10, 0
	v_mul_hi_u32 v11, v1, v9
	v_add_co_u32_e32 v12, vcc, v11, v6
	v_addc_co_u32_e32 v13, vcc, 0, v7, vcc
	v_mad_u64_u32 v[6:7], s[10:11], v8, v10, 0
	v_mad_u64_u32 v[10:11], s[10:11], v8, v9, 0
	v_add_co_u32_e32 v9, vcc, v12, v10
	v_addc_co_u32_e32 v9, vcc, v13, v11, vcc
	v_addc_co_u32_e32 v7, vcc, 0, v7, vcc
	v_add_co_u32_e32 v9, vcc, v9, v6
	v_addc_co_u32_e32 v10, vcc, 0, v7, vcc
	v_mul_lo_u32 v11, s47, v9
	v_mul_lo_u32 v12, s46, v10
	v_mad_u64_u32 v[6:7], s[10:11], s46, v9, 0
	v_add3_u32 v7, v7, v12, v11
	v_sub_u32_e32 v11, v8, v7
	v_mov_b32_e32 v12, s47
	v_sub_co_u32_e32 v1, vcc, v1, v6
	v_subb_co_u32_e64 v6, s[10:11], v11, v12, vcc
	v_subrev_co_u32_e64 v11, s[10:11], s46, v1
	v_subbrev_co_u32_e64 v6, s[10:11], 0, v6, s[10:11]
	v_cmp_le_u32_e64 s[10:11], s47, v6
	v_cndmask_b32_e64 v12, 0, -1, s[10:11]
	v_cmp_le_u32_e64 s[10:11], s46, v11
	v_cndmask_b32_e64 v11, 0, -1, s[10:11]
	v_cmp_eq_u32_e64 s[10:11], s47, v6
	v_cndmask_b32_e64 v6, v12, v11, s[10:11]
	v_add_co_u32_e64 v11, s[10:11], 2, v9
	v_subb_co_u32_e32 v7, vcc, v8, v7, vcc
	v_addc_co_u32_e64 v12, s[10:11], 0, v10, s[10:11]
	v_cmp_le_u32_e32 vcc, s47, v7
	v_add_co_u32_e64 v13, s[10:11], 1, v9
	v_cndmask_b32_e64 v8, 0, -1, vcc
	v_cmp_le_u32_e32 vcc, s46, v1
	v_addc_co_u32_e64 v14, s[10:11], 0, v10, s[10:11]
	v_cndmask_b32_e64 v1, 0, -1, vcc
	v_cmp_eq_u32_e32 vcc, s47, v7
	v_cmp_ne_u32_e64 s[10:11], 0, v6
	v_cndmask_b32_e32 v1, v8, v1, vcc
	v_cndmask_b32_e64 v6, v14, v12, s[10:11]
	v_cmp_ne_u32_e32 vcc, 0, v1
	v_cndmask_b32_e64 v1, v13, v11, s[10:11]
	v_cndmask_b32_e32 v7, v10, v6, vcc
	v_cndmask_b32_e32 v6, v9, v1, vcc
                                        ; implicit-def: $vgpr1
.LBB28_19:
	s_andn2_saveexec_b64 s[10:11], s[14:15]
	s_cbranch_execz .LBB28_21
; %bb.20:
	v_cvt_f32_u32_e32 v6, s46
	s_sub_i32 s14, 0, s46
	v_rcp_iflag_f32_e32 v6, v6
	v_mul_f32_e32 v6, 0x4f7ffffe, v6
	v_cvt_u32_f32_e32 v6, v6
	v_mul_lo_u32 v7, s14, v6
	v_mul_hi_u32 v7, v6, v7
	v_add_u32_e32 v6, v6, v7
	v_mul_hi_u32 v6, v1, v6
	v_mul_lo_u32 v7, v6, s46
	v_sub_u32_e32 v1, v1, v7
	v_add_u32_e32 v8, 1, v6
	v_subrev_u32_e32 v7, s46, v1
	v_cmp_le_u32_e32 vcc, s46, v1
	v_cndmask_b32_e32 v1, v1, v7, vcc
	v_cndmask_b32_e32 v6, v6, v8, vcc
	v_add_u32_e32 v7, 1, v6
	v_cmp_le_u32_e32 vcc, s46, v1
	v_cndmask_b32_e32 v6, v6, v7, vcc
	v_mov_b32_e32 v7, 0
.LBB28_21:
	s_or_b64 exec, exec, s[10:11]
.LBB28_22:
	s_or_b64 exec, exec, s[12:13]
	v_or_b32_e32 v1, 0x300, v0
	v_cmp_gt_u32_e64 s[10:11], s64, v1
	v_pk_mov_b32 v[8:9], v[54:55], v[54:55] op_sel:[0,1]
	s_and_saveexec_b64 s[14:15], s[10:11]
	s_cbranch_execz .LBB28_28
; %bb.23:
	v_mov_b32_e32 v9, s45
	v_add_co_u32_e32 v1, vcc, s44, v1
	v_addc_co_u32_e32 v10, vcc, 0, v9, vcc
	v_mov_b32_e32 v8, 0
	v_or_b32_e32 v9, s47, v10
	v_cmp_ne_u64_e32 vcc, 0, v[8:9]
                                        ; implicit-def: $vgpr8_vgpr9
	s_and_saveexec_b64 s[12:13], vcc
	s_xor_b64 s[16:17], exec, s[12:13]
	s_cbranch_execz .LBB28_25
; %bb.24:
	v_cvt_f32_u32_e32 v8, s46
	v_cvt_f32_u32_e32 v9, s47
	s_sub_u32 s12, 0, s46
	s_subb_u32 s13, 0, s47
	v_madmk_f32 v8, v9, 0x4f800000, v8
	v_rcp_f32_e32 v8, v8
	v_mul_f32_e32 v8, 0x5f7ffffc, v8
	v_mul_f32_e32 v9, 0x2f800000, v8
	v_trunc_f32_e32 v9, v9
	v_madmk_f32 v8, v9, 0xcf800000, v8
	v_cvt_u32_f32_e32 v9, v9
	v_cvt_u32_f32_e32 v8, v8
	v_mul_lo_u32 v11, s12, v9
	v_mul_hi_u32 v13, s12, v8
	v_mul_lo_u32 v12, s13, v8
	v_add_u32_e32 v11, v13, v11
	v_mul_lo_u32 v14, s12, v8
	v_add_u32_e32 v11, v11, v12
	v_mul_hi_u32 v13, v8, v14
	v_mul_lo_u32 v15, v8, v11
	v_mul_hi_u32 v12, v8, v11
	v_add_co_u32_e32 v13, vcc, v13, v15
	v_addc_co_u32_e32 v12, vcc, 0, v12, vcc
	v_mul_hi_u32 v16, v9, v14
	v_mul_lo_u32 v14, v9, v14
	v_add_co_u32_e32 v13, vcc, v13, v14
	v_mul_hi_u32 v15, v9, v11
	v_addc_co_u32_e32 v12, vcc, v12, v16, vcc
	v_addc_co_u32_e32 v13, vcc, 0, v15, vcc
	v_mul_lo_u32 v11, v9, v11
	v_add_co_u32_e32 v11, vcc, v12, v11
	v_addc_co_u32_e32 v12, vcc, 0, v13, vcc
	v_add_co_u32_e32 v8, vcc, v8, v11
	v_addc_co_u32_e32 v9, vcc, v9, v12, vcc
	v_mul_lo_u32 v11, s12, v9
	v_mul_hi_u32 v12, s12, v8
	v_add_u32_e32 v11, v12, v11
	v_mul_lo_u32 v12, s13, v8
	v_add_u32_e32 v11, v11, v12
	v_mul_lo_u32 v13, s12, v8
	v_mul_hi_u32 v14, v9, v13
	v_mul_lo_u32 v15, v9, v13
	v_mul_lo_u32 v17, v8, v11
	v_mul_hi_u32 v13, v8, v13
	v_mul_hi_u32 v16, v8, v11
	v_add_co_u32_e32 v13, vcc, v13, v17
	v_addc_co_u32_e32 v16, vcc, 0, v16, vcc
	v_add_co_u32_e32 v13, vcc, v13, v15
	v_mul_hi_u32 v12, v9, v11
	v_addc_co_u32_e32 v13, vcc, v16, v14, vcc
	v_addc_co_u32_e32 v12, vcc, 0, v12, vcc
	v_mul_lo_u32 v11, v9, v11
	v_add_co_u32_e32 v11, vcc, v13, v11
	v_addc_co_u32_e32 v12, vcc, 0, v12, vcc
	v_add_co_u32_e32 v11, vcc, v8, v11
	v_addc_co_u32_e32 v12, vcc, v9, v12, vcc
	v_mad_u64_u32 v[8:9], s[12:13], v1, v12, 0
	v_mul_hi_u32 v13, v1, v11
	v_add_co_u32_e32 v14, vcc, v13, v8
	v_addc_co_u32_e32 v15, vcc, 0, v9, vcc
	v_mad_u64_u32 v[8:9], s[12:13], v10, v12, 0
	v_mad_u64_u32 v[12:13], s[12:13], v10, v11, 0
	v_add_co_u32_e32 v11, vcc, v14, v12
	v_addc_co_u32_e32 v11, vcc, v15, v13, vcc
	v_addc_co_u32_e32 v9, vcc, 0, v9, vcc
	v_add_co_u32_e32 v11, vcc, v11, v8
	v_addc_co_u32_e32 v12, vcc, 0, v9, vcc
	v_mul_lo_u32 v13, s47, v11
	v_mul_lo_u32 v14, s46, v12
	v_mad_u64_u32 v[8:9], s[12:13], s46, v11, 0
	v_add3_u32 v9, v9, v14, v13
	v_sub_u32_e32 v13, v10, v9
	v_mov_b32_e32 v14, s47
	v_sub_co_u32_e32 v1, vcc, v1, v8
	v_subb_co_u32_e64 v8, s[12:13], v13, v14, vcc
	v_subrev_co_u32_e64 v13, s[12:13], s46, v1
	v_subbrev_co_u32_e64 v8, s[12:13], 0, v8, s[12:13]
	v_cmp_le_u32_e64 s[12:13], s47, v8
	v_cndmask_b32_e64 v14, 0, -1, s[12:13]
	v_cmp_le_u32_e64 s[12:13], s46, v13
	v_cndmask_b32_e64 v13, 0, -1, s[12:13]
	v_cmp_eq_u32_e64 s[12:13], s47, v8
	v_cndmask_b32_e64 v8, v14, v13, s[12:13]
	v_add_co_u32_e64 v13, s[12:13], 2, v11
	v_subb_co_u32_e32 v9, vcc, v10, v9, vcc
	v_addc_co_u32_e64 v14, s[12:13], 0, v12, s[12:13]
	v_cmp_le_u32_e32 vcc, s47, v9
	v_add_co_u32_e64 v15, s[12:13], 1, v11
	v_cndmask_b32_e64 v10, 0, -1, vcc
	v_cmp_le_u32_e32 vcc, s46, v1
	v_addc_co_u32_e64 v16, s[12:13], 0, v12, s[12:13]
	v_cndmask_b32_e64 v1, 0, -1, vcc
	v_cmp_eq_u32_e32 vcc, s47, v9
	v_cmp_ne_u32_e64 s[12:13], 0, v8
	v_cndmask_b32_e32 v1, v10, v1, vcc
	v_cndmask_b32_e64 v8, v16, v14, s[12:13]
	v_cmp_ne_u32_e32 vcc, 0, v1
	v_cndmask_b32_e64 v1, v15, v13, s[12:13]
	v_cndmask_b32_e32 v9, v12, v8, vcc
	v_cndmask_b32_e32 v8, v11, v1, vcc
                                        ; implicit-def: $vgpr1
.LBB28_25:
	s_andn2_saveexec_b64 s[12:13], s[16:17]
	s_cbranch_execz .LBB28_27
; %bb.26:
	v_cvt_f32_u32_e32 v8, s46
	s_sub_i32 s16, 0, s46
	v_rcp_iflag_f32_e32 v8, v8
	v_mul_f32_e32 v8, 0x4f7ffffe, v8
	v_cvt_u32_f32_e32 v8, v8
	v_mul_lo_u32 v9, s16, v8
	v_mul_hi_u32 v9, v8, v9
	v_add_u32_e32 v8, v8, v9
	v_mul_hi_u32 v8, v1, v8
	v_mul_lo_u32 v9, v8, s46
	v_sub_u32_e32 v1, v1, v9
	v_add_u32_e32 v10, 1, v8
	v_subrev_u32_e32 v9, s46, v1
	v_cmp_le_u32_e32 vcc, s46, v1
	v_cndmask_b32_e32 v1, v1, v9, vcc
	v_cndmask_b32_e32 v8, v8, v10, vcc
	v_add_u32_e32 v9, 1, v8
	v_cmp_le_u32_e32 vcc, s46, v1
	v_cndmask_b32_e32 v8, v8, v9, vcc
	v_mov_b32_e32 v9, 0
.LBB28_27:
	s_or_b64 exec, exec, s[12:13]
.LBB28_28:
	s_or_b64 exec, exec, s[14:15]
	v_or_b32_e32 v1, 0x400, v0
	v_cmp_gt_u32_e64 s[12:13], s64, v1
	v_pk_mov_b32 v[10:11], v[54:55], v[54:55] op_sel:[0,1]
	s_and_saveexec_b64 s[16:17], s[12:13]
	s_cbranch_execz .LBB28_34
; %bb.29:
	v_mov_b32_e32 v11, s45
	v_add_co_u32_e32 v12, vcc, s44, v1
	v_addc_co_u32_e32 v13, vcc, 0, v11, vcc
	v_mov_b32_e32 v10, 0
	v_or_b32_e32 v11, s47, v13
	v_cmp_ne_u64_e32 vcc, 0, v[10:11]
                                        ; implicit-def: $vgpr10_vgpr11
	s_and_saveexec_b64 s[14:15], vcc
	s_xor_b64 s[18:19], exec, s[14:15]
	s_cbranch_execz .LBB28_31
; %bb.30:
	v_cvt_f32_u32_e32 v10, s46
	v_cvt_f32_u32_e32 v11, s47
	s_sub_u32 s14, 0, s46
	s_subb_u32 s15, 0, s47
	v_madmk_f32 v10, v11, 0x4f800000, v10
	v_rcp_f32_e32 v10, v10
	v_mul_f32_e32 v10, 0x5f7ffffc, v10
	v_mul_f32_e32 v11, 0x2f800000, v10
	v_trunc_f32_e32 v11, v11
	v_madmk_f32 v10, v11, 0xcf800000, v10
	v_cvt_u32_f32_e32 v11, v11
	v_cvt_u32_f32_e32 v10, v10
	v_mul_lo_u32 v14, s14, v11
	v_mul_hi_u32 v16, s14, v10
	v_mul_lo_u32 v15, s15, v10
	v_add_u32_e32 v14, v16, v14
	v_mul_lo_u32 v17, s14, v10
	v_add_u32_e32 v14, v14, v15
	v_mul_hi_u32 v16, v10, v17
	v_mul_lo_u32 v18, v10, v14
	v_mul_hi_u32 v15, v10, v14
	v_add_co_u32_e32 v16, vcc, v16, v18
	v_addc_co_u32_e32 v15, vcc, 0, v15, vcc
	v_mul_hi_u32 v19, v11, v17
	v_mul_lo_u32 v17, v11, v17
	v_add_co_u32_e32 v16, vcc, v16, v17
	v_mul_hi_u32 v18, v11, v14
	v_addc_co_u32_e32 v15, vcc, v15, v19, vcc
	v_addc_co_u32_e32 v16, vcc, 0, v18, vcc
	v_mul_lo_u32 v14, v11, v14
	v_add_co_u32_e32 v14, vcc, v15, v14
	v_addc_co_u32_e32 v15, vcc, 0, v16, vcc
	v_add_co_u32_e32 v10, vcc, v10, v14
	v_addc_co_u32_e32 v11, vcc, v11, v15, vcc
	v_mul_lo_u32 v14, s14, v11
	v_mul_hi_u32 v15, s14, v10
	v_add_u32_e32 v14, v15, v14
	v_mul_lo_u32 v15, s15, v10
	v_add_u32_e32 v14, v14, v15
	v_mul_lo_u32 v16, s14, v10
	v_mul_hi_u32 v17, v11, v16
	v_mul_lo_u32 v18, v11, v16
	v_mul_lo_u32 v20, v10, v14
	v_mul_hi_u32 v16, v10, v16
	v_mul_hi_u32 v19, v10, v14
	v_add_co_u32_e32 v16, vcc, v16, v20
	v_addc_co_u32_e32 v19, vcc, 0, v19, vcc
	v_add_co_u32_e32 v16, vcc, v16, v18
	v_mul_hi_u32 v15, v11, v14
	v_addc_co_u32_e32 v16, vcc, v19, v17, vcc
	v_addc_co_u32_e32 v15, vcc, 0, v15, vcc
	v_mul_lo_u32 v14, v11, v14
	v_add_co_u32_e32 v14, vcc, v16, v14
	v_addc_co_u32_e32 v15, vcc, 0, v15, vcc
	v_add_co_u32_e32 v14, vcc, v10, v14
	v_addc_co_u32_e32 v15, vcc, v11, v15, vcc
	v_mad_u64_u32 v[10:11], s[14:15], v12, v15, 0
	v_mul_hi_u32 v16, v12, v14
	v_add_co_u32_e32 v16, vcc, v16, v10
	v_addc_co_u32_e32 v17, vcc, 0, v11, vcc
	v_mad_u64_u32 v[10:11], s[14:15], v13, v15, 0
	v_mad_u64_u32 v[14:15], s[14:15], v13, v14, 0
	v_add_co_u32_e32 v14, vcc, v16, v14
	v_addc_co_u32_e32 v14, vcc, v17, v15, vcc
	v_addc_co_u32_e32 v11, vcc, 0, v11, vcc
	v_add_co_u32_e32 v14, vcc, v14, v10
	v_addc_co_u32_e32 v15, vcc, 0, v11, vcc
	v_mul_lo_u32 v16, s47, v14
	v_mul_lo_u32 v17, s46, v15
	v_mad_u64_u32 v[10:11], s[14:15], s46, v14, 0
	v_add3_u32 v11, v11, v17, v16
	v_sub_u32_e32 v16, v13, v11
	v_mov_b32_e32 v17, s47
	v_sub_co_u32_e32 v10, vcc, v12, v10
	v_subb_co_u32_e64 v12, s[14:15], v16, v17, vcc
	v_subrev_co_u32_e64 v16, s[14:15], s46, v10
	v_subbrev_co_u32_e64 v12, s[14:15], 0, v12, s[14:15]
	v_cmp_le_u32_e64 s[14:15], s47, v12
	v_cndmask_b32_e64 v17, 0, -1, s[14:15]
	v_cmp_le_u32_e64 s[14:15], s46, v16
	v_cndmask_b32_e64 v16, 0, -1, s[14:15]
	v_cmp_eq_u32_e64 s[14:15], s47, v12
	v_cndmask_b32_e64 v12, v17, v16, s[14:15]
	v_add_co_u32_e64 v16, s[14:15], 2, v14
	v_subb_co_u32_e32 v11, vcc, v13, v11, vcc
	v_addc_co_u32_e64 v17, s[14:15], 0, v15, s[14:15]
	v_cmp_le_u32_e32 vcc, s47, v11
	v_add_co_u32_e64 v18, s[14:15], 1, v14
	v_cndmask_b32_e64 v13, 0, -1, vcc
	v_cmp_le_u32_e32 vcc, s46, v10
	v_addc_co_u32_e64 v19, s[14:15], 0, v15, s[14:15]
	v_cndmask_b32_e64 v10, 0, -1, vcc
	v_cmp_eq_u32_e32 vcc, s47, v11
	v_cmp_ne_u32_e64 s[14:15], 0, v12
	v_cndmask_b32_e32 v10, v13, v10, vcc
	v_cndmask_b32_e64 v12, v19, v17, s[14:15]
	v_cmp_ne_u32_e32 vcc, 0, v10
	v_cndmask_b32_e64 v10, v18, v16, s[14:15]
	v_cndmask_b32_e32 v11, v15, v12, vcc
	v_cndmask_b32_e32 v10, v14, v10, vcc
                                        ; implicit-def: $vgpr12
.LBB28_31:
	s_andn2_saveexec_b64 s[14:15], s[18:19]
	s_cbranch_execz .LBB28_33
; %bb.32:
	v_cvt_f32_u32_e32 v10, s46
	s_sub_i32 s18, 0, s46
	v_rcp_iflag_f32_e32 v10, v10
	v_mul_f32_e32 v10, 0x4f7ffffe, v10
	v_cvt_u32_f32_e32 v10, v10
	v_mul_lo_u32 v11, s18, v10
	v_mul_hi_u32 v11, v10, v11
	v_add_u32_e32 v10, v10, v11
	v_mul_hi_u32 v10, v12, v10
	v_mul_lo_u32 v11, v10, s46
	v_sub_u32_e32 v11, v12, v11
	v_add_u32_e32 v13, 1, v10
	v_subrev_u32_e32 v12, s46, v11
	v_cmp_le_u32_e32 vcc, s46, v11
	v_cndmask_b32_e32 v11, v11, v12, vcc
	v_cndmask_b32_e32 v10, v10, v13, vcc
	v_add_u32_e32 v12, 1, v10
	v_cmp_le_u32_e32 vcc, s46, v11
	v_cndmask_b32_e32 v10, v10, v12, vcc
	v_mov_b32_e32 v11, 0
.LBB28_33:
	s_or_b64 exec, exec, s[14:15]
.LBB28_34:
	s_or_b64 exec, exec, s[16:17]
	v_or_b32_e32 v56, 0x500, v0
	v_cmp_gt_u32_e64 s[14:15], s64, v56
	v_pk_mov_b32 v[12:13], v[54:55], v[54:55] op_sel:[0,1]
	s_and_saveexec_b64 s[18:19], s[14:15]
	s_cbranch_execz .LBB28_40
; %bb.35:
	v_mov_b32_e32 v13, s45
	v_add_co_u32_e32 v14, vcc, s44, v56
	v_addc_co_u32_e32 v15, vcc, 0, v13, vcc
	v_mov_b32_e32 v12, 0
	v_or_b32_e32 v13, s47, v15
	v_cmp_ne_u64_e32 vcc, 0, v[12:13]
                                        ; implicit-def: $vgpr12_vgpr13
	s_and_saveexec_b64 s[16:17], vcc
	s_xor_b64 s[20:21], exec, s[16:17]
	s_cbranch_execz .LBB28_37
; %bb.36:
	v_cvt_f32_u32_e32 v12, s46
	v_cvt_f32_u32_e32 v13, s47
	s_sub_u32 s16, 0, s46
	s_subb_u32 s17, 0, s47
	v_madmk_f32 v12, v13, 0x4f800000, v12
	v_rcp_f32_e32 v12, v12
	v_mul_f32_e32 v12, 0x5f7ffffc, v12
	v_mul_f32_e32 v13, 0x2f800000, v12
	v_trunc_f32_e32 v13, v13
	v_madmk_f32 v12, v13, 0xcf800000, v12
	v_cvt_u32_f32_e32 v13, v13
	v_cvt_u32_f32_e32 v12, v12
	v_mul_lo_u32 v16, s16, v13
	v_mul_hi_u32 v18, s16, v12
	v_mul_lo_u32 v17, s17, v12
	v_add_u32_e32 v16, v18, v16
	v_mul_lo_u32 v19, s16, v12
	v_add_u32_e32 v16, v16, v17
	v_mul_hi_u32 v18, v12, v19
	v_mul_lo_u32 v20, v12, v16
	v_mul_hi_u32 v17, v12, v16
	v_add_co_u32_e32 v18, vcc, v18, v20
	v_addc_co_u32_e32 v17, vcc, 0, v17, vcc
	v_mul_hi_u32 v21, v13, v19
	v_mul_lo_u32 v19, v13, v19
	v_add_co_u32_e32 v18, vcc, v18, v19
	v_mul_hi_u32 v20, v13, v16
	v_addc_co_u32_e32 v17, vcc, v17, v21, vcc
	v_addc_co_u32_e32 v18, vcc, 0, v20, vcc
	v_mul_lo_u32 v16, v13, v16
	v_add_co_u32_e32 v16, vcc, v17, v16
	v_addc_co_u32_e32 v17, vcc, 0, v18, vcc
	v_add_co_u32_e32 v12, vcc, v12, v16
	v_addc_co_u32_e32 v13, vcc, v13, v17, vcc
	v_mul_lo_u32 v16, s16, v13
	v_mul_hi_u32 v17, s16, v12
	v_add_u32_e32 v16, v17, v16
	v_mul_lo_u32 v17, s17, v12
	v_add_u32_e32 v16, v16, v17
	v_mul_lo_u32 v18, s16, v12
	v_mul_hi_u32 v19, v13, v18
	v_mul_lo_u32 v20, v13, v18
	v_mul_lo_u32 v22, v12, v16
	v_mul_hi_u32 v18, v12, v18
	v_mul_hi_u32 v21, v12, v16
	v_add_co_u32_e32 v18, vcc, v18, v22
	v_addc_co_u32_e32 v21, vcc, 0, v21, vcc
	v_add_co_u32_e32 v18, vcc, v18, v20
	v_mul_hi_u32 v17, v13, v16
	v_addc_co_u32_e32 v18, vcc, v21, v19, vcc
	v_addc_co_u32_e32 v17, vcc, 0, v17, vcc
	v_mul_lo_u32 v16, v13, v16
	v_add_co_u32_e32 v16, vcc, v18, v16
	v_addc_co_u32_e32 v17, vcc, 0, v17, vcc
	v_add_co_u32_e32 v16, vcc, v12, v16
	v_addc_co_u32_e32 v17, vcc, v13, v17, vcc
	v_mad_u64_u32 v[12:13], s[16:17], v14, v17, 0
	v_mul_hi_u32 v18, v14, v16
	v_add_co_u32_e32 v18, vcc, v18, v12
	v_addc_co_u32_e32 v19, vcc, 0, v13, vcc
	v_mad_u64_u32 v[12:13], s[16:17], v15, v17, 0
	v_mad_u64_u32 v[16:17], s[16:17], v15, v16, 0
	v_add_co_u32_e32 v16, vcc, v18, v16
	v_addc_co_u32_e32 v16, vcc, v19, v17, vcc
	v_addc_co_u32_e32 v13, vcc, 0, v13, vcc
	v_add_co_u32_e32 v16, vcc, v16, v12
	v_addc_co_u32_e32 v17, vcc, 0, v13, vcc
	v_mul_lo_u32 v18, s47, v16
	v_mul_lo_u32 v19, s46, v17
	v_mad_u64_u32 v[12:13], s[16:17], s46, v16, 0
	v_add3_u32 v13, v13, v19, v18
	v_sub_u32_e32 v18, v15, v13
	v_mov_b32_e32 v19, s47
	v_sub_co_u32_e32 v12, vcc, v14, v12
	v_subb_co_u32_e64 v14, s[16:17], v18, v19, vcc
	v_subrev_co_u32_e64 v18, s[16:17], s46, v12
	v_subbrev_co_u32_e64 v14, s[16:17], 0, v14, s[16:17]
	v_cmp_le_u32_e64 s[16:17], s47, v14
	v_cndmask_b32_e64 v19, 0, -1, s[16:17]
	v_cmp_le_u32_e64 s[16:17], s46, v18
	v_cndmask_b32_e64 v18, 0, -1, s[16:17]
	v_cmp_eq_u32_e64 s[16:17], s47, v14
	v_cndmask_b32_e64 v14, v19, v18, s[16:17]
	v_add_co_u32_e64 v18, s[16:17], 2, v16
	v_subb_co_u32_e32 v13, vcc, v15, v13, vcc
	v_addc_co_u32_e64 v19, s[16:17], 0, v17, s[16:17]
	v_cmp_le_u32_e32 vcc, s47, v13
	v_add_co_u32_e64 v20, s[16:17], 1, v16
	v_cndmask_b32_e64 v15, 0, -1, vcc
	v_cmp_le_u32_e32 vcc, s46, v12
	v_addc_co_u32_e64 v21, s[16:17], 0, v17, s[16:17]
	v_cndmask_b32_e64 v12, 0, -1, vcc
	v_cmp_eq_u32_e32 vcc, s47, v13
	v_cmp_ne_u32_e64 s[16:17], 0, v14
	v_cndmask_b32_e32 v12, v15, v12, vcc
	v_cndmask_b32_e64 v14, v21, v19, s[16:17]
	v_cmp_ne_u32_e32 vcc, 0, v12
	v_cndmask_b32_e64 v12, v20, v18, s[16:17]
	v_cndmask_b32_e32 v13, v17, v14, vcc
	v_cndmask_b32_e32 v12, v16, v12, vcc
                                        ; implicit-def: $vgpr14
.LBB28_37:
	s_andn2_saveexec_b64 s[16:17], s[20:21]
	s_cbranch_execz .LBB28_39
; %bb.38:
	v_cvt_f32_u32_e32 v12, s46
	s_sub_i32 s20, 0, s46
	v_rcp_iflag_f32_e32 v12, v12
	v_mul_f32_e32 v12, 0x4f7ffffe, v12
	v_cvt_u32_f32_e32 v12, v12
	v_mul_lo_u32 v13, s20, v12
	v_mul_hi_u32 v13, v12, v13
	v_add_u32_e32 v12, v12, v13
	v_mul_hi_u32 v12, v14, v12
	v_mul_lo_u32 v13, v12, s46
	v_sub_u32_e32 v13, v14, v13
	v_add_u32_e32 v15, 1, v12
	v_subrev_u32_e32 v14, s46, v13
	v_cmp_le_u32_e32 vcc, s46, v13
	v_cndmask_b32_e32 v13, v13, v14, vcc
	v_cndmask_b32_e32 v12, v12, v15, vcc
	v_add_u32_e32 v14, 1, v12
	v_cmp_le_u32_e32 vcc, s46, v13
	v_cndmask_b32_e32 v12, v12, v14, vcc
	v_mov_b32_e32 v13, 0
.LBB28_39:
	s_or_b64 exec, exec, s[16:17]
.LBB28_40:
	s_or_b64 exec, exec, s[18:19]
	v_or_b32_e32 v57, 0x600, v0
	v_cmp_gt_u32_e64 s[16:17], s64, v57
	v_pk_mov_b32 v[14:15], v[54:55], v[54:55] op_sel:[0,1]
	s_and_saveexec_b64 s[20:21], s[16:17]
	s_cbranch_execz .LBB28_46
; %bb.41:
	v_mov_b32_e32 v15, s45
	v_add_co_u32_e32 v16, vcc, s44, v57
	v_addc_co_u32_e32 v17, vcc, 0, v15, vcc
	v_mov_b32_e32 v14, 0
	v_or_b32_e32 v15, s47, v17
	v_cmp_ne_u64_e32 vcc, 0, v[14:15]
                                        ; implicit-def: $vgpr14_vgpr15
	s_and_saveexec_b64 s[18:19], vcc
	s_xor_b64 s[22:23], exec, s[18:19]
	s_cbranch_execz .LBB28_43
; %bb.42:
	v_cvt_f32_u32_e32 v14, s46
	v_cvt_f32_u32_e32 v15, s47
	s_sub_u32 s18, 0, s46
	s_subb_u32 s19, 0, s47
	v_madmk_f32 v14, v15, 0x4f800000, v14
	v_rcp_f32_e32 v14, v14
	v_mul_f32_e32 v14, 0x5f7ffffc, v14
	v_mul_f32_e32 v15, 0x2f800000, v14
	v_trunc_f32_e32 v15, v15
	v_madmk_f32 v14, v15, 0xcf800000, v14
	v_cvt_u32_f32_e32 v15, v15
	v_cvt_u32_f32_e32 v14, v14
	v_mul_lo_u32 v18, s18, v15
	v_mul_hi_u32 v20, s18, v14
	v_mul_lo_u32 v19, s19, v14
	v_add_u32_e32 v18, v20, v18
	v_mul_lo_u32 v21, s18, v14
	v_add_u32_e32 v18, v18, v19
	v_mul_hi_u32 v20, v14, v21
	v_mul_lo_u32 v22, v14, v18
	v_mul_hi_u32 v19, v14, v18
	v_add_co_u32_e32 v20, vcc, v20, v22
	v_addc_co_u32_e32 v19, vcc, 0, v19, vcc
	v_mul_hi_u32 v23, v15, v21
	v_mul_lo_u32 v21, v15, v21
	v_add_co_u32_e32 v20, vcc, v20, v21
	v_mul_hi_u32 v22, v15, v18
	v_addc_co_u32_e32 v19, vcc, v19, v23, vcc
	v_addc_co_u32_e32 v20, vcc, 0, v22, vcc
	v_mul_lo_u32 v18, v15, v18
	v_add_co_u32_e32 v18, vcc, v19, v18
	v_addc_co_u32_e32 v19, vcc, 0, v20, vcc
	v_add_co_u32_e32 v14, vcc, v14, v18
	v_addc_co_u32_e32 v15, vcc, v15, v19, vcc
	v_mul_lo_u32 v18, s18, v15
	v_mul_hi_u32 v19, s18, v14
	v_add_u32_e32 v18, v19, v18
	v_mul_lo_u32 v19, s19, v14
	v_add_u32_e32 v18, v18, v19
	v_mul_lo_u32 v20, s18, v14
	v_mul_hi_u32 v21, v15, v20
	v_mul_lo_u32 v22, v15, v20
	v_mul_lo_u32 v24, v14, v18
	v_mul_hi_u32 v20, v14, v20
	v_mul_hi_u32 v23, v14, v18
	v_add_co_u32_e32 v20, vcc, v20, v24
	v_addc_co_u32_e32 v23, vcc, 0, v23, vcc
	v_add_co_u32_e32 v20, vcc, v20, v22
	v_mul_hi_u32 v19, v15, v18
	v_addc_co_u32_e32 v20, vcc, v23, v21, vcc
	v_addc_co_u32_e32 v19, vcc, 0, v19, vcc
	v_mul_lo_u32 v18, v15, v18
	v_add_co_u32_e32 v18, vcc, v20, v18
	v_addc_co_u32_e32 v19, vcc, 0, v19, vcc
	v_add_co_u32_e32 v18, vcc, v14, v18
	v_addc_co_u32_e32 v19, vcc, v15, v19, vcc
	v_mad_u64_u32 v[14:15], s[18:19], v16, v19, 0
	v_mul_hi_u32 v20, v16, v18
	v_add_co_u32_e32 v20, vcc, v20, v14
	v_addc_co_u32_e32 v21, vcc, 0, v15, vcc
	v_mad_u64_u32 v[14:15], s[18:19], v17, v19, 0
	v_mad_u64_u32 v[18:19], s[18:19], v17, v18, 0
	v_add_co_u32_e32 v18, vcc, v20, v18
	v_addc_co_u32_e32 v18, vcc, v21, v19, vcc
	v_addc_co_u32_e32 v15, vcc, 0, v15, vcc
	v_add_co_u32_e32 v18, vcc, v18, v14
	v_addc_co_u32_e32 v19, vcc, 0, v15, vcc
	v_mul_lo_u32 v20, s47, v18
	v_mul_lo_u32 v21, s46, v19
	v_mad_u64_u32 v[14:15], s[18:19], s46, v18, 0
	v_add3_u32 v15, v15, v21, v20
	v_sub_u32_e32 v20, v17, v15
	v_mov_b32_e32 v21, s47
	v_sub_co_u32_e32 v14, vcc, v16, v14
	v_subb_co_u32_e64 v16, s[18:19], v20, v21, vcc
	v_subrev_co_u32_e64 v20, s[18:19], s46, v14
	v_subbrev_co_u32_e64 v16, s[18:19], 0, v16, s[18:19]
	v_cmp_le_u32_e64 s[18:19], s47, v16
	v_cndmask_b32_e64 v21, 0, -1, s[18:19]
	v_cmp_le_u32_e64 s[18:19], s46, v20
	v_cndmask_b32_e64 v20, 0, -1, s[18:19]
	v_cmp_eq_u32_e64 s[18:19], s47, v16
	v_cndmask_b32_e64 v16, v21, v20, s[18:19]
	v_add_co_u32_e64 v20, s[18:19], 2, v18
	v_subb_co_u32_e32 v15, vcc, v17, v15, vcc
	v_addc_co_u32_e64 v21, s[18:19], 0, v19, s[18:19]
	v_cmp_le_u32_e32 vcc, s47, v15
	v_add_co_u32_e64 v22, s[18:19], 1, v18
	v_cndmask_b32_e64 v17, 0, -1, vcc
	v_cmp_le_u32_e32 vcc, s46, v14
	v_addc_co_u32_e64 v23, s[18:19], 0, v19, s[18:19]
	v_cndmask_b32_e64 v14, 0, -1, vcc
	v_cmp_eq_u32_e32 vcc, s47, v15
	v_cmp_ne_u32_e64 s[18:19], 0, v16
	v_cndmask_b32_e32 v14, v17, v14, vcc
	v_cndmask_b32_e64 v16, v23, v21, s[18:19]
	v_cmp_ne_u32_e32 vcc, 0, v14
	v_cndmask_b32_e64 v14, v22, v20, s[18:19]
	v_cndmask_b32_e32 v15, v19, v16, vcc
	v_cndmask_b32_e32 v14, v18, v14, vcc
                                        ; implicit-def: $vgpr16
.LBB28_43:
	s_andn2_saveexec_b64 s[18:19], s[22:23]
	s_cbranch_execz .LBB28_45
; %bb.44:
	v_cvt_f32_u32_e32 v14, s46
	s_sub_i32 s22, 0, s46
	v_rcp_iflag_f32_e32 v14, v14
	v_mul_f32_e32 v14, 0x4f7ffffe, v14
	v_cvt_u32_f32_e32 v14, v14
	v_mul_lo_u32 v15, s22, v14
	v_mul_hi_u32 v15, v14, v15
	v_add_u32_e32 v14, v14, v15
	v_mul_hi_u32 v14, v16, v14
	v_mul_lo_u32 v15, v14, s46
	v_sub_u32_e32 v15, v16, v15
	v_add_u32_e32 v17, 1, v14
	v_subrev_u32_e32 v16, s46, v15
	v_cmp_le_u32_e32 vcc, s46, v15
	v_cndmask_b32_e32 v15, v15, v16, vcc
	v_cndmask_b32_e32 v14, v14, v17, vcc
	v_add_u32_e32 v16, 1, v14
	v_cmp_le_u32_e32 vcc, s46, v15
	v_cndmask_b32_e32 v14, v14, v16, vcc
	v_mov_b32_e32 v15, 0
.LBB28_45:
	s_or_b64 exec, exec, s[18:19]
.LBB28_46:
	s_or_b64 exec, exec, s[20:21]
	v_or_b32_e32 v58, 0x700, v0
	v_cmp_gt_u32_e64 s[18:19], s64, v58
	v_pk_mov_b32 v[16:17], v[54:55], v[54:55] op_sel:[0,1]
	s_and_saveexec_b64 s[22:23], s[18:19]
	s_cbranch_execz .LBB28_52
; %bb.47:
	v_mov_b32_e32 v17, s45
	v_add_co_u32_e32 v18, vcc, s44, v58
	v_addc_co_u32_e32 v19, vcc, 0, v17, vcc
	v_mov_b32_e32 v16, 0
	v_or_b32_e32 v17, s47, v19
	v_cmp_ne_u64_e32 vcc, 0, v[16:17]
                                        ; implicit-def: $vgpr16_vgpr17
	s_and_saveexec_b64 s[20:21], vcc
	s_xor_b64 s[24:25], exec, s[20:21]
	s_cbranch_execz .LBB28_49
; %bb.48:
	v_cvt_f32_u32_e32 v16, s46
	v_cvt_f32_u32_e32 v17, s47
	s_sub_u32 s20, 0, s46
	s_subb_u32 s21, 0, s47
	v_madmk_f32 v16, v17, 0x4f800000, v16
	v_rcp_f32_e32 v16, v16
	v_mul_f32_e32 v16, 0x5f7ffffc, v16
	v_mul_f32_e32 v17, 0x2f800000, v16
	v_trunc_f32_e32 v17, v17
	v_madmk_f32 v16, v17, 0xcf800000, v16
	v_cvt_u32_f32_e32 v17, v17
	v_cvt_u32_f32_e32 v16, v16
	v_mul_lo_u32 v20, s20, v17
	v_mul_hi_u32 v22, s20, v16
	v_mul_lo_u32 v21, s21, v16
	v_add_u32_e32 v20, v22, v20
	v_mul_lo_u32 v23, s20, v16
	v_add_u32_e32 v20, v20, v21
	v_mul_hi_u32 v22, v16, v23
	v_mul_lo_u32 v24, v16, v20
	v_mul_hi_u32 v21, v16, v20
	v_add_co_u32_e32 v22, vcc, v22, v24
	v_addc_co_u32_e32 v21, vcc, 0, v21, vcc
	v_mul_hi_u32 v25, v17, v23
	v_mul_lo_u32 v23, v17, v23
	v_add_co_u32_e32 v22, vcc, v22, v23
	v_mul_hi_u32 v24, v17, v20
	v_addc_co_u32_e32 v21, vcc, v21, v25, vcc
	v_addc_co_u32_e32 v22, vcc, 0, v24, vcc
	v_mul_lo_u32 v20, v17, v20
	v_add_co_u32_e32 v20, vcc, v21, v20
	v_addc_co_u32_e32 v21, vcc, 0, v22, vcc
	v_add_co_u32_e32 v16, vcc, v16, v20
	v_addc_co_u32_e32 v17, vcc, v17, v21, vcc
	v_mul_lo_u32 v20, s20, v17
	v_mul_hi_u32 v21, s20, v16
	v_add_u32_e32 v20, v21, v20
	v_mul_lo_u32 v21, s21, v16
	v_add_u32_e32 v20, v20, v21
	v_mul_lo_u32 v22, s20, v16
	v_mul_hi_u32 v23, v17, v22
	v_mul_lo_u32 v24, v17, v22
	v_mul_lo_u32 v26, v16, v20
	v_mul_hi_u32 v22, v16, v22
	v_mul_hi_u32 v25, v16, v20
	v_add_co_u32_e32 v22, vcc, v22, v26
	v_addc_co_u32_e32 v25, vcc, 0, v25, vcc
	v_add_co_u32_e32 v22, vcc, v22, v24
	v_mul_hi_u32 v21, v17, v20
	v_addc_co_u32_e32 v22, vcc, v25, v23, vcc
	v_addc_co_u32_e32 v21, vcc, 0, v21, vcc
	v_mul_lo_u32 v20, v17, v20
	v_add_co_u32_e32 v20, vcc, v22, v20
	v_addc_co_u32_e32 v21, vcc, 0, v21, vcc
	v_add_co_u32_e32 v20, vcc, v16, v20
	v_addc_co_u32_e32 v21, vcc, v17, v21, vcc
	v_mad_u64_u32 v[16:17], s[20:21], v18, v21, 0
	v_mul_hi_u32 v22, v18, v20
	v_add_co_u32_e32 v22, vcc, v22, v16
	v_addc_co_u32_e32 v23, vcc, 0, v17, vcc
	v_mad_u64_u32 v[16:17], s[20:21], v19, v21, 0
	v_mad_u64_u32 v[20:21], s[20:21], v19, v20, 0
	v_add_co_u32_e32 v20, vcc, v22, v20
	v_addc_co_u32_e32 v20, vcc, v23, v21, vcc
	v_addc_co_u32_e32 v17, vcc, 0, v17, vcc
	v_add_co_u32_e32 v20, vcc, v20, v16
	v_addc_co_u32_e32 v21, vcc, 0, v17, vcc
	v_mul_lo_u32 v22, s47, v20
	v_mul_lo_u32 v23, s46, v21
	v_mad_u64_u32 v[16:17], s[20:21], s46, v20, 0
	v_add3_u32 v17, v17, v23, v22
	v_sub_u32_e32 v22, v19, v17
	v_mov_b32_e32 v23, s47
	v_sub_co_u32_e32 v16, vcc, v18, v16
	v_subb_co_u32_e64 v18, s[20:21], v22, v23, vcc
	v_subrev_co_u32_e64 v22, s[20:21], s46, v16
	v_subbrev_co_u32_e64 v18, s[20:21], 0, v18, s[20:21]
	v_cmp_le_u32_e64 s[20:21], s47, v18
	v_cndmask_b32_e64 v23, 0, -1, s[20:21]
	v_cmp_le_u32_e64 s[20:21], s46, v22
	v_cndmask_b32_e64 v22, 0, -1, s[20:21]
	v_cmp_eq_u32_e64 s[20:21], s47, v18
	v_cndmask_b32_e64 v18, v23, v22, s[20:21]
	v_add_co_u32_e64 v22, s[20:21], 2, v20
	v_subb_co_u32_e32 v17, vcc, v19, v17, vcc
	v_addc_co_u32_e64 v23, s[20:21], 0, v21, s[20:21]
	v_cmp_le_u32_e32 vcc, s47, v17
	v_add_co_u32_e64 v24, s[20:21], 1, v20
	v_cndmask_b32_e64 v19, 0, -1, vcc
	v_cmp_le_u32_e32 vcc, s46, v16
	v_addc_co_u32_e64 v25, s[20:21], 0, v21, s[20:21]
	v_cndmask_b32_e64 v16, 0, -1, vcc
	v_cmp_eq_u32_e32 vcc, s47, v17
	v_cmp_ne_u32_e64 s[20:21], 0, v18
	v_cndmask_b32_e32 v16, v19, v16, vcc
	v_cndmask_b32_e64 v18, v25, v23, s[20:21]
	v_cmp_ne_u32_e32 vcc, 0, v16
	v_cndmask_b32_e64 v16, v24, v22, s[20:21]
	v_cndmask_b32_e32 v17, v21, v18, vcc
	v_cndmask_b32_e32 v16, v20, v16, vcc
                                        ; implicit-def: $vgpr18
.LBB28_49:
	s_andn2_saveexec_b64 s[20:21], s[24:25]
	s_cbranch_execz .LBB28_51
; %bb.50:
	v_cvt_f32_u32_e32 v16, s46
	s_sub_i32 s24, 0, s46
	v_rcp_iflag_f32_e32 v16, v16
	v_mul_f32_e32 v16, 0x4f7ffffe, v16
	v_cvt_u32_f32_e32 v16, v16
	v_mul_lo_u32 v17, s24, v16
	v_mul_hi_u32 v17, v16, v17
	v_add_u32_e32 v16, v16, v17
	v_mul_hi_u32 v16, v18, v16
	v_mul_lo_u32 v17, v16, s46
	v_sub_u32_e32 v17, v18, v17
	v_add_u32_e32 v19, 1, v16
	v_subrev_u32_e32 v18, s46, v17
	v_cmp_le_u32_e32 vcc, s46, v17
	v_cndmask_b32_e32 v17, v17, v18, vcc
	v_cndmask_b32_e32 v16, v16, v19, vcc
	v_add_u32_e32 v18, 1, v16
	v_cmp_le_u32_e32 vcc, s46, v17
	v_cndmask_b32_e32 v16, v16, v18, vcc
	v_mov_b32_e32 v17, 0
.LBB28_51:
	s_or_b64 exec, exec, s[20:21]
.LBB28_52:
	s_or_b64 exec, exec, s[22:23]
	v_or_b32_e32 v59, 0x800, v0
	v_cmp_gt_u32_e64 s[20:21], s64, v59
	v_pk_mov_b32 v[18:19], v[54:55], v[54:55] op_sel:[0,1]
	s_and_saveexec_b64 s[24:25], s[20:21]
	s_cbranch_execz .LBB28_58
; %bb.53:
	v_mov_b32_e32 v19, s45
	v_add_co_u32_e32 v20, vcc, s44, v59
	v_addc_co_u32_e32 v21, vcc, 0, v19, vcc
	v_mov_b32_e32 v18, 0
	v_or_b32_e32 v19, s47, v21
	v_cmp_ne_u64_e32 vcc, 0, v[18:19]
                                        ; implicit-def: $vgpr18_vgpr19
	s_and_saveexec_b64 s[22:23], vcc
	s_xor_b64 s[26:27], exec, s[22:23]
	s_cbranch_execz .LBB28_55
; %bb.54:
	v_cvt_f32_u32_e32 v18, s46
	v_cvt_f32_u32_e32 v19, s47
	s_sub_u32 s22, 0, s46
	s_subb_u32 s23, 0, s47
	v_madmk_f32 v18, v19, 0x4f800000, v18
	v_rcp_f32_e32 v18, v18
	v_mul_f32_e32 v18, 0x5f7ffffc, v18
	v_mul_f32_e32 v19, 0x2f800000, v18
	v_trunc_f32_e32 v19, v19
	v_madmk_f32 v18, v19, 0xcf800000, v18
	v_cvt_u32_f32_e32 v19, v19
	v_cvt_u32_f32_e32 v18, v18
	v_mul_lo_u32 v22, s22, v19
	v_mul_hi_u32 v24, s22, v18
	v_mul_lo_u32 v23, s23, v18
	v_add_u32_e32 v22, v24, v22
	v_mul_lo_u32 v25, s22, v18
	v_add_u32_e32 v22, v22, v23
	v_mul_hi_u32 v24, v18, v25
	v_mul_lo_u32 v26, v18, v22
	v_mul_hi_u32 v23, v18, v22
	v_add_co_u32_e32 v24, vcc, v24, v26
	v_addc_co_u32_e32 v23, vcc, 0, v23, vcc
	v_mul_hi_u32 v27, v19, v25
	v_mul_lo_u32 v25, v19, v25
	v_add_co_u32_e32 v24, vcc, v24, v25
	v_mul_hi_u32 v26, v19, v22
	v_addc_co_u32_e32 v23, vcc, v23, v27, vcc
	v_addc_co_u32_e32 v24, vcc, 0, v26, vcc
	v_mul_lo_u32 v22, v19, v22
	v_add_co_u32_e32 v22, vcc, v23, v22
	v_addc_co_u32_e32 v23, vcc, 0, v24, vcc
	v_add_co_u32_e32 v18, vcc, v18, v22
	v_addc_co_u32_e32 v19, vcc, v19, v23, vcc
	v_mul_lo_u32 v22, s22, v19
	v_mul_hi_u32 v23, s22, v18
	v_add_u32_e32 v22, v23, v22
	v_mul_lo_u32 v23, s23, v18
	v_add_u32_e32 v22, v22, v23
	v_mul_lo_u32 v24, s22, v18
	v_mul_hi_u32 v25, v19, v24
	v_mul_lo_u32 v26, v19, v24
	v_mul_lo_u32 v28, v18, v22
	v_mul_hi_u32 v24, v18, v24
	v_mul_hi_u32 v27, v18, v22
	v_add_co_u32_e32 v24, vcc, v24, v28
	v_addc_co_u32_e32 v27, vcc, 0, v27, vcc
	v_add_co_u32_e32 v24, vcc, v24, v26
	v_mul_hi_u32 v23, v19, v22
	v_addc_co_u32_e32 v24, vcc, v27, v25, vcc
	v_addc_co_u32_e32 v23, vcc, 0, v23, vcc
	v_mul_lo_u32 v22, v19, v22
	v_add_co_u32_e32 v22, vcc, v24, v22
	v_addc_co_u32_e32 v23, vcc, 0, v23, vcc
	v_add_co_u32_e32 v22, vcc, v18, v22
	v_addc_co_u32_e32 v23, vcc, v19, v23, vcc
	v_mad_u64_u32 v[18:19], s[22:23], v20, v23, 0
	v_mul_hi_u32 v24, v20, v22
	v_add_co_u32_e32 v24, vcc, v24, v18
	v_addc_co_u32_e32 v25, vcc, 0, v19, vcc
	v_mad_u64_u32 v[18:19], s[22:23], v21, v23, 0
	v_mad_u64_u32 v[22:23], s[22:23], v21, v22, 0
	v_add_co_u32_e32 v22, vcc, v24, v22
	v_addc_co_u32_e32 v22, vcc, v25, v23, vcc
	v_addc_co_u32_e32 v19, vcc, 0, v19, vcc
	v_add_co_u32_e32 v22, vcc, v22, v18
	v_addc_co_u32_e32 v23, vcc, 0, v19, vcc
	v_mul_lo_u32 v24, s47, v22
	v_mul_lo_u32 v25, s46, v23
	v_mad_u64_u32 v[18:19], s[22:23], s46, v22, 0
	v_add3_u32 v19, v19, v25, v24
	v_sub_u32_e32 v24, v21, v19
	v_mov_b32_e32 v25, s47
	v_sub_co_u32_e32 v18, vcc, v20, v18
	v_subb_co_u32_e64 v20, s[22:23], v24, v25, vcc
	v_subrev_co_u32_e64 v24, s[22:23], s46, v18
	v_subbrev_co_u32_e64 v20, s[22:23], 0, v20, s[22:23]
	v_cmp_le_u32_e64 s[22:23], s47, v20
	v_cndmask_b32_e64 v25, 0, -1, s[22:23]
	v_cmp_le_u32_e64 s[22:23], s46, v24
	v_cndmask_b32_e64 v24, 0, -1, s[22:23]
	v_cmp_eq_u32_e64 s[22:23], s47, v20
	v_cndmask_b32_e64 v20, v25, v24, s[22:23]
	v_add_co_u32_e64 v24, s[22:23], 2, v22
	v_subb_co_u32_e32 v19, vcc, v21, v19, vcc
	v_addc_co_u32_e64 v25, s[22:23], 0, v23, s[22:23]
	v_cmp_le_u32_e32 vcc, s47, v19
	v_add_co_u32_e64 v26, s[22:23], 1, v22
	v_cndmask_b32_e64 v21, 0, -1, vcc
	v_cmp_le_u32_e32 vcc, s46, v18
	v_addc_co_u32_e64 v27, s[22:23], 0, v23, s[22:23]
	v_cndmask_b32_e64 v18, 0, -1, vcc
	v_cmp_eq_u32_e32 vcc, s47, v19
	v_cmp_ne_u32_e64 s[22:23], 0, v20
	v_cndmask_b32_e32 v18, v21, v18, vcc
	v_cndmask_b32_e64 v20, v27, v25, s[22:23]
	v_cmp_ne_u32_e32 vcc, 0, v18
	v_cndmask_b32_e64 v18, v26, v24, s[22:23]
	v_cndmask_b32_e32 v19, v23, v20, vcc
	v_cndmask_b32_e32 v18, v22, v18, vcc
                                        ; implicit-def: $vgpr20
.LBB28_55:
	s_andn2_saveexec_b64 s[22:23], s[26:27]
	s_cbranch_execz .LBB28_57
; %bb.56:
	v_cvt_f32_u32_e32 v18, s46
	s_sub_i32 s26, 0, s46
	v_rcp_iflag_f32_e32 v18, v18
	v_mul_f32_e32 v18, 0x4f7ffffe, v18
	v_cvt_u32_f32_e32 v18, v18
	v_mul_lo_u32 v19, s26, v18
	v_mul_hi_u32 v19, v18, v19
	v_add_u32_e32 v18, v18, v19
	v_mul_hi_u32 v18, v20, v18
	v_mul_lo_u32 v19, v18, s46
	v_sub_u32_e32 v19, v20, v19
	v_add_u32_e32 v21, 1, v18
	v_subrev_u32_e32 v20, s46, v19
	v_cmp_le_u32_e32 vcc, s46, v19
	v_cndmask_b32_e32 v19, v19, v20, vcc
	v_cndmask_b32_e32 v18, v18, v21, vcc
	v_add_u32_e32 v20, 1, v18
	v_cmp_le_u32_e32 vcc, s46, v19
	v_cndmask_b32_e32 v18, v18, v20, vcc
	v_mov_b32_e32 v19, 0
.LBB28_57:
	s_or_b64 exec, exec, s[22:23]
.LBB28_58:
	s_or_b64 exec, exec, s[24:25]
	v_or_b32_e32 v60, 0x900, v0
	v_cmp_gt_u32_e64 s[22:23], s64, v60
	v_pk_mov_b32 v[20:21], v[54:55], v[54:55] op_sel:[0,1]
	s_and_saveexec_b64 s[26:27], s[22:23]
	s_cbranch_execz .LBB28_64
; %bb.59:
	v_mov_b32_e32 v21, s45
	v_add_co_u32_e32 v22, vcc, s44, v60
	v_addc_co_u32_e32 v23, vcc, 0, v21, vcc
	v_mov_b32_e32 v20, 0
	v_or_b32_e32 v21, s47, v23
	v_cmp_ne_u64_e32 vcc, 0, v[20:21]
                                        ; implicit-def: $vgpr20_vgpr21
	s_and_saveexec_b64 s[24:25], vcc
	s_xor_b64 s[28:29], exec, s[24:25]
	s_cbranch_execz .LBB28_61
; %bb.60:
	v_cvt_f32_u32_e32 v20, s46
	v_cvt_f32_u32_e32 v21, s47
	s_sub_u32 s24, 0, s46
	s_subb_u32 s25, 0, s47
	v_madmk_f32 v20, v21, 0x4f800000, v20
	v_rcp_f32_e32 v20, v20
	v_mul_f32_e32 v20, 0x5f7ffffc, v20
	v_mul_f32_e32 v21, 0x2f800000, v20
	v_trunc_f32_e32 v21, v21
	v_madmk_f32 v20, v21, 0xcf800000, v20
	v_cvt_u32_f32_e32 v21, v21
	v_cvt_u32_f32_e32 v20, v20
	v_mul_lo_u32 v24, s24, v21
	v_mul_hi_u32 v26, s24, v20
	v_mul_lo_u32 v25, s25, v20
	v_add_u32_e32 v24, v26, v24
	v_mul_lo_u32 v27, s24, v20
	v_add_u32_e32 v24, v24, v25
	v_mul_hi_u32 v26, v20, v27
	v_mul_lo_u32 v28, v20, v24
	v_mul_hi_u32 v25, v20, v24
	v_add_co_u32_e32 v26, vcc, v26, v28
	v_addc_co_u32_e32 v25, vcc, 0, v25, vcc
	v_mul_hi_u32 v29, v21, v27
	v_mul_lo_u32 v27, v21, v27
	v_add_co_u32_e32 v26, vcc, v26, v27
	v_mul_hi_u32 v28, v21, v24
	v_addc_co_u32_e32 v25, vcc, v25, v29, vcc
	v_addc_co_u32_e32 v26, vcc, 0, v28, vcc
	v_mul_lo_u32 v24, v21, v24
	v_add_co_u32_e32 v24, vcc, v25, v24
	v_addc_co_u32_e32 v25, vcc, 0, v26, vcc
	v_add_co_u32_e32 v20, vcc, v20, v24
	v_addc_co_u32_e32 v21, vcc, v21, v25, vcc
	v_mul_lo_u32 v24, s24, v21
	v_mul_hi_u32 v25, s24, v20
	v_add_u32_e32 v24, v25, v24
	v_mul_lo_u32 v25, s25, v20
	v_add_u32_e32 v24, v24, v25
	v_mul_lo_u32 v26, s24, v20
	v_mul_hi_u32 v27, v21, v26
	v_mul_lo_u32 v28, v21, v26
	v_mul_lo_u32 v30, v20, v24
	v_mul_hi_u32 v26, v20, v26
	v_mul_hi_u32 v29, v20, v24
	v_add_co_u32_e32 v26, vcc, v26, v30
	v_addc_co_u32_e32 v29, vcc, 0, v29, vcc
	v_add_co_u32_e32 v26, vcc, v26, v28
	v_mul_hi_u32 v25, v21, v24
	v_addc_co_u32_e32 v26, vcc, v29, v27, vcc
	v_addc_co_u32_e32 v25, vcc, 0, v25, vcc
	v_mul_lo_u32 v24, v21, v24
	v_add_co_u32_e32 v24, vcc, v26, v24
	v_addc_co_u32_e32 v25, vcc, 0, v25, vcc
	v_add_co_u32_e32 v24, vcc, v20, v24
	v_addc_co_u32_e32 v25, vcc, v21, v25, vcc
	v_mad_u64_u32 v[20:21], s[24:25], v22, v25, 0
	v_mul_hi_u32 v26, v22, v24
	v_add_co_u32_e32 v26, vcc, v26, v20
	v_addc_co_u32_e32 v27, vcc, 0, v21, vcc
	v_mad_u64_u32 v[20:21], s[24:25], v23, v25, 0
	v_mad_u64_u32 v[24:25], s[24:25], v23, v24, 0
	v_add_co_u32_e32 v24, vcc, v26, v24
	v_addc_co_u32_e32 v24, vcc, v27, v25, vcc
	v_addc_co_u32_e32 v21, vcc, 0, v21, vcc
	v_add_co_u32_e32 v24, vcc, v24, v20
	v_addc_co_u32_e32 v25, vcc, 0, v21, vcc
	v_mul_lo_u32 v26, s47, v24
	v_mul_lo_u32 v27, s46, v25
	v_mad_u64_u32 v[20:21], s[24:25], s46, v24, 0
	v_add3_u32 v21, v21, v27, v26
	v_sub_u32_e32 v26, v23, v21
	v_mov_b32_e32 v27, s47
	v_sub_co_u32_e32 v20, vcc, v22, v20
	v_subb_co_u32_e64 v22, s[24:25], v26, v27, vcc
	v_subrev_co_u32_e64 v26, s[24:25], s46, v20
	v_subbrev_co_u32_e64 v22, s[24:25], 0, v22, s[24:25]
	v_cmp_le_u32_e64 s[24:25], s47, v22
	v_cndmask_b32_e64 v27, 0, -1, s[24:25]
	v_cmp_le_u32_e64 s[24:25], s46, v26
	v_cndmask_b32_e64 v26, 0, -1, s[24:25]
	v_cmp_eq_u32_e64 s[24:25], s47, v22
	v_cndmask_b32_e64 v22, v27, v26, s[24:25]
	v_add_co_u32_e64 v26, s[24:25], 2, v24
	v_subb_co_u32_e32 v21, vcc, v23, v21, vcc
	v_addc_co_u32_e64 v27, s[24:25], 0, v25, s[24:25]
	v_cmp_le_u32_e32 vcc, s47, v21
	v_add_co_u32_e64 v28, s[24:25], 1, v24
	v_cndmask_b32_e64 v23, 0, -1, vcc
	v_cmp_le_u32_e32 vcc, s46, v20
	v_addc_co_u32_e64 v29, s[24:25], 0, v25, s[24:25]
	v_cndmask_b32_e64 v20, 0, -1, vcc
	v_cmp_eq_u32_e32 vcc, s47, v21
	v_cmp_ne_u32_e64 s[24:25], 0, v22
	v_cndmask_b32_e32 v20, v23, v20, vcc
	v_cndmask_b32_e64 v22, v29, v27, s[24:25]
	v_cmp_ne_u32_e32 vcc, 0, v20
	v_cndmask_b32_e64 v20, v28, v26, s[24:25]
	v_cndmask_b32_e32 v21, v25, v22, vcc
	v_cndmask_b32_e32 v20, v24, v20, vcc
                                        ; implicit-def: $vgpr22
.LBB28_61:
	s_andn2_saveexec_b64 s[24:25], s[28:29]
	s_cbranch_execz .LBB28_63
; %bb.62:
	v_cvt_f32_u32_e32 v20, s46
	s_sub_i32 s28, 0, s46
	v_rcp_iflag_f32_e32 v20, v20
	v_mul_f32_e32 v20, 0x4f7ffffe, v20
	v_cvt_u32_f32_e32 v20, v20
	v_mul_lo_u32 v21, s28, v20
	v_mul_hi_u32 v21, v20, v21
	v_add_u32_e32 v20, v20, v21
	v_mul_hi_u32 v20, v22, v20
	v_mul_lo_u32 v21, v20, s46
	v_sub_u32_e32 v21, v22, v21
	v_add_u32_e32 v23, 1, v20
	v_subrev_u32_e32 v22, s46, v21
	v_cmp_le_u32_e32 vcc, s46, v21
	v_cndmask_b32_e32 v21, v21, v22, vcc
	v_cndmask_b32_e32 v20, v20, v23, vcc
	v_add_u32_e32 v22, 1, v20
	v_cmp_le_u32_e32 vcc, s46, v21
	v_cndmask_b32_e32 v20, v20, v22, vcc
	v_mov_b32_e32 v21, 0
.LBB28_63:
	s_or_b64 exec, exec, s[24:25]
.LBB28_64:
	s_or_b64 exec, exec, s[26:27]
	v_or_b32_e32 v61, 0xa00, v0
	v_cmp_gt_u32_e64 s[24:25], s64, v61
	v_pk_mov_b32 v[22:23], v[54:55], v[54:55] op_sel:[0,1]
	s_and_saveexec_b64 s[28:29], s[24:25]
	s_cbranch_execz .LBB28_70
; %bb.65:
	v_mov_b32_e32 v23, s45
	v_add_co_u32_e32 v24, vcc, s44, v61
	v_addc_co_u32_e32 v25, vcc, 0, v23, vcc
	v_mov_b32_e32 v22, 0
	v_or_b32_e32 v23, s47, v25
	v_cmp_ne_u64_e32 vcc, 0, v[22:23]
                                        ; implicit-def: $vgpr22_vgpr23
	s_and_saveexec_b64 s[26:27], vcc
	s_xor_b64 s[30:31], exec, s[26:27]
	s_cbranch_execz .LBB28_67
; %bb.66:
	v_cvt_f32_u32_e32 v22, s46
	v_cvt_f32_u32_e32 v23, s47
	s_sub_u32 s26, 0, s46
	s_subb_u32 s27, 0, s47
	v_madmk_f32 v22, v23, 0x4f800000, v22
	v_rcp_f32_e32 v22, v22
	v_mul_f32_e32 v22, 0x5f7ffffc, v22
	v_mul_f32_e32 v23, 0x2f800000, v22
	v_trunc_f32_e32 v23, v23
	v_madmk_f32 v22, v23, 0xcf800000, v22
	v_cvt_u32_f32_e32 v23, v23
	v_cvt_u32_f32_e32 v22, v22
	v_mul_lo_u32 v26, s26, v23
	v_mul_hi_u32 v28, s26, v22
	v_mul_lo_u32 v27, s27, v22
	v_add_u32_e32 v26, v28, v26
	v_mul_lo_u32 v29, s26, v22
	v_add_u32_e32 v26, v26, v27
	v_mul_hi_u32 v28, v22, v29
	v_mul_lo_u32 v30, v22, v26
	v_mul_hi_u32 v27, v22, v26
	v_add_co_u32_e32 v28, vcc, v28, v30
	v_addc_co_u32_e32 v27, vcc, 0, v27, vcc
	v_mul_hi_u32 v31, v23, v29
	v_mul_lo_u32 v29, v23, v29
	v_add_co_u32_e32 v28, vcc, v28, v29
	v_mul_hi_u32 v30, v23, v26
	v_addc_co_u32_e32 v27, vcc, v27, v31, vcc
	v_addc_co_u32_e32 v28, vcc, 0, v30, vcc
	v_mul_lo_u32 v26, v23, v26
	v_add_co_u32_e32 v26, vcc, v27, v26
	v_addc_co_u32_e32 v27, vcc, 0, v28, vcc
	v_add_co_u32_e32 v22, vcc, v22, v26
	v_addc_co_u32_e32 v23, vcc, v23, v27, vcc
	v_mul_lo_u32 v26, s26, v23
	v_mul_hi_u32 v27, s26, v22
	v_add_u32_e32 v26, v27, v26
	v_mul_lo_u32 v27, s27, v22
	v_add_u32_e32 v26, v26, v27
	v_mul_lo_u32 v28, s26, v22
	v_mul_hi_u32 v29, v23, v28
	v_mul_lo_u32 v30, v23, v28
	v_mul_lo_u32 v32, v22, v26
	v_mul_hi_u32 v28, v22, v28
	v_mul_hi_u32 v31, v22, v26
	v_add_co_u32_e32 v28, vcc, v28, v32
	v_addc_co_u32_e32 v31, vcc, 0, v31, vcc
	v_add_co_u32_e32 v28, vcc, v28, v30
	v_mul_hi_u32 v27, v23, v26
	v_addc_co_u32_e32 v28, vcc, v31, v29, vcc
	v_addc_co_u32_e32 v27, vcc, 0, v27, vcc
	v_mul_lo_u32 v26, v23, v26
	v_add_co_u32_e32 v26, vcc, v28, v26
	v_addc_co_u32_e32 v27, vcc, 0, v27, vcc
	v_add_co_u32_e32 v26, vcc, v22, v26
	v_addc_co_u32_e32 v27, vcc, v23, v27, vcc
	v_mad_u64_u32 v[22:23], s[26:27], v24, v27, 0
	v_mul_hi_u32 v28, v24, v26
	v_add_co_u32_e32 v28, vcc, v28, v22
	v_addc_co_u32_e32 v29, vcc, 0, v23, vcc
	v_mad_u64_u32 v[22:23], s[26:27], v25, v27, 0
	v_mad_u64_u32 v[26:27], s[26:27], v25, v26, 0
	v_add_co_u32_e32 v26, vcc, v28, v26
	v_addc_co_u32_e32 v26, vcc, v29, v27, vcc
	v_addc_co_u32_e32 v23, vcc, 0, v23, vcc
	v_add_co_u32_e32 v26, vcc, v26, v22
	v_addc_co_u32_e32 v27, vcc, 0, v23, vcc
	v_mul_lo_u32 v28, s47, v26
	v_mul_lo_u32 v29, s46, v27
	v_mad_u64_u32 v[22:23], s[26:27], s46, v26, 0
	v_add3_u32 v23, v23, v29, v28
	v_sub_u32_e32 v28, v25, v23
	v_mov_b32_e32 v29, s47
	v_sub_co_u32_e32 v22, vcc, v24, v22
	v_subb_co_u32_e64 v24, s[26:27], v28, v29, vcc
	v_subrev_co_u32_e64 v28, s[26:27], s46, v22
	v_subbrev_co_u32_e64 v24, s[26:27], 0, v24, s[26:27]
	v_cmp_le_u32_e64 s[26:27], s47, v24
	v_cndmask_b32_e64 v29, 0, -1, s[26:27]
	v_cmp_le_u32_e64 s[26:27], s46, v28
	v_cndmask_b32_e64 v28, 0, -1, s[26:27]
	v_cmp_eq_u32_e64 s[26:27], s47, v24
	v_cndmask_b32_e64 v24, v29, v28, s[26:27]
	v_add_co_u32_e64 v28, s[26:27], 2, v26
	v_subb_co_u32_e32 v23, vcc, v25, v23, vcc
	v_addc_co_u32_e64 v29, s[26:27], 0, v27, s[26:27]
	v_cmp_le_u32_e32 vcc, s47, v23
	v_add_co_u32_e64 v30, s[26:27], 1, v26
	v_cndmask_b32_e64 v25, 0, -1, vcc
	v_cmp_le_u32_e32 vcc, s46, v22
	v_addc_co_u32_e64 v31, s[26:27], 0, v27, s[26:27]
	v_cndmask_b32_e64 v22, 0, -1, vcc
	v_cmp_eq_u32_e32 vcc, s47, v23
	v_cmp_ne_u32_e64 s[26:27], 0, v24
	v_cndmask_b32_e32 v22, v25, v22, vcc
	v_cndmask_b32_e64 v24, v31, v29, s[26:27]
	v_cmp_ne_u32_e32 vcc, 0, v22
	v_cndmask_b32_e64 v22, v30, v28, s[26:27]
	v_cndmask_b32_e32 v23, v27, v24, vcc
	v_cndmask_b32_e32 v22, v26, v22, vcc
                                        ; implicit-def: $vgpr24
.LBB28_67:
	s_andn2_saveexec_b64 s[26:27], s[30:31]
	s_cbranch_execz .LBB28_69
; %bb.68:
	v_cvt_f32_u32_e32 v22, s46
	s_sub_i32 s30, 0, s46
	v_rcp_iflag_f32_e32 v22, v22
	v_mul_f32_e32 v22, 0x4f7ffffe, v22
	v_cvt_u32_f32_e32 v22, v22
	v_mul_lo_u32 v23, s30, v22
	v_mul_hi_u32 v23, v22, v23
	v_add_u32_e32 v22, v22, v23
	v_mul_hi_u32 v22, v24, v22
	v_mul_lo_u32 v23, v22, s46
	v_sub_u32_e32 v23, v24, v23
	v_add_u32_e32 v25, 1, v22
	v_subrev_u32_e32 v24, s46, v23
	v_cmp_le_u32_e32 vcc, s46, v23
	v_cndmask_b32_e32 v23, v23, v24, vcc
	v_cndmask_b32_e32 v22, v22, v25, vcc
	v_add_u32_e32 v24, 1, v22
	v_cmp_le_u32_e32 vcc, s46, v23
	v_cndmask_b32_e32 v22, v22, v24, vcc
	v_mov_b32_e32 v23, 0
.LBB28_69:
	s_or_b64 exec, exec, s[26:27]
.LBB28_70:
	s_or_b64 exec, exec, s[28:29]
	v_or_b32_e32 v62, 0xb00, v0
	v_cmp_gt_u32_e64 s[26:27], s64, v62
	v_pk_mov_b32 v[24:25], v[54:55], v[54:55] op_sel:[0,1]
	s_and_saveexec_b64 s[30:31], s[26:27]
	s_cbranch_execz .LBB28_76
; %bb.71:
	v_mov_b32_e32 v25, s45
	v_add_co_u32_e32 v26, vcc, s44, v62
	v_addc_co_u32_e32 v27, vcc, 0, v25, vcc
	v_mov_b32_e32 v24, 0
	v_or_b32_e32 v25, s47, v27
	v_cmp_ne_u64_e32 vcc, 0, v[24:25]
                                        ; implicit-def: $vgpr24_vgpr25
	s_and_saveexec_b64 s[28:29], vcc
	s_xor_b64 s[36:37], exec, s[28:29]
	s_cbranch_execz .LBB28_73
; %bb.72:
	v_cvt_f32_u32_e32 v24, s46
	v_cvt_f32_u32_e32 v25, s47
	s_sub_u32 s28, 0, s46
	s_subb_u32 s29, 0, s47
	v_madmk_f32 v24, v25, 0x4f800000, v24
	v_rcp_f32_e32 v24, v24
	v_mul_f32_e32 v24, 0x5f7ffffc, v24
	v_mul_f32_e32 v25, 0x2f800000, v24
	v_trunc_f32_e32 v25, v25
	v_madmk_f32 v24, v25, 0xcf800000, v24
	v_cvt_u32_f32_e32 v25, v25
	v_cvt_u32_f32_e32 v24, v24
	v_mul_lo_u32 v28, s28, v25
	v_mul_hi_u32 v30, s28, v24
	v_mul_lo_u32 v29, s29, v24
	v_add_u32_e32 v28, v30, v28
	v_mul_lo_u32 v31, s28, v24
	v_add_u32_e32 v28, v28, v29
	v_mul_hi_u32 v30, v24, v31
	v_mul_lo_u32 v32, v24, v28
	v_mul_hi_u32 v29, v24, v28
	v_add_co_u32_e32 v30, vcc, v30, v32
	v_addc_co_u32_e32 v29, vcc, 0, v29, vcc
	v_mul_hi_u32 v33, v25, v31
	v_mul_lo_u32 v31, v25, v31
	v_add_co_u32_e32 v30, vcc, v30, v31
	v_mul_hi_u32 v32, v25, v28
	v_addc_co_u32_e32 v29, vcc, v29, v33, vcc
	v_addc_co_u32_e32 v30, vcc, 0, v32, vcc
	v_mul_lo_u32 v28, v25, v28
	v_add_co_u32_e32 v28, vcc, v29, v28
	v_addc_co_u32_e32 v29, vcc, 0, v30, vcc
	v_add_co_u32_e32 v24, vcc, v24, v28
	v_addc_co_u32_e32 v25, vcc, v25, v29, vcc
	v_mul_lo_u32 v28, s28, v25
	v_mul_hi_u32 v29, s28, v24
	v_add_u32_e32 v28, v29, v28
	v_mul_lo_u32 v29, s29, v24
	v_add_u32_e32 v28, v28, v29
	v_mul_lo_u32 v30, s28, v24
	v_mul_hi_u32 v31, v25, v30
	v_mul_lo_u32 v32, v25, v30
	v_mul_lo_u32 v34, v24, v28
	v_mul_hi_u32 v30, v24, v30
	v_mul_hi_u32 v33, v24, v28
	v_add_co_u32_e32 v30, vcc, v30, v34
	v_addc_co_u32_e32 v33, vcc, 0, v33, vcc
	v_add_co_u32_e32 v30, vcc, v30, v32
	v_mul_hi_u32 v29, v25, v28
	v_addc_co_u32_e32 v30, vcc, v33, v31, vcc
	v_addc_co_u32_e32 v29, vcc, 0, v29, vcc
	v_mul_lo_u32 v28, v25, v28
	v_add_co_u32_e32 v28, vcc, v30, v28
	v_addc_co_u32_e32 v29, vcc, 0, v29, vcc
	v_add_co_u32_e32 v28, vcc, v24, v28
	v_addc_co_u32_e32 v29, vcc, v25, v29, vcc
	v_mad_u64_u32 v[24:25], s[28:29], v26, v29, 0
	v_mul_hi_u32 v30, v26, v28
	v_add_co_u32_e32 v30, vcc, v30, v24
	v_addc_co_u32_e32 v31, vcc, 0, v25, vcc
	v_mad_u64_u32 v[24:25], s[28:29], v27, v29, 0
	v_mad_u64_u32 v[28:29], s[28:29], v27, v28, 0
	v_add_co_u32_e32 v28, vcc, v30, v28
	v_addc_co_u32_e32 v28, vcc, v31, v29, vcc
	v_addc_co_u32_e32 v25, vcc, 0, v25, vcc
	v_add_co_u32_e32 v28, vcc, v28, v24
	v_addc_co_u32_e32 v29, vcc, 0, v25, vcc
	v_mul_lo_u32 v30, s47, v28
	v_mul_lo_u32 v31, s46, v29
	v_mad_u64_u32 v[24:25], s[28:29], s46, v28, 0
	v_add3_u32 v25, v25, v31, v30
	v_sub_u32_e32 v30, v27, v25
	v_mov_b32_e32 v31, s47
	v_sub_co_u32_e32 v24, vcc, v26, v24
	v_subb_co_u32_e64 v26, s[28:29], v30, v31, vcc
	v_subrev_co_u32_e64 v30, s[28:29], s46, v24
	v_subbrev_co_u32_e64 v26, s[28:29], 0, v26, s[28:29]
	v_cmp_le_u32_e64 s[28:29], s47, v26
	v_cndmask_b32_e64 v31, 0, -1, s[28:29]
	v_cmp_le_u32_e64 s[28:29], s46, v30
	v_cndmask_b32_e64 v30, 0, -1, s[28:29]
	v_cmp_eq_u32_e64 s[28:29], s47, v26
	v_cndmask_b32_e64 v26, v31, v30, s[28:29]
	v_add_co_u32_e64 v30, s[28:29], 2, v28
	v_subb_co_u32_e32 v25, vcc, v27, v25, vcc
	v_addc_co_u32_e64 v31, s[28:29], 0, v29, s[28:29]
	v_cmp_le_u32_e32 vcc, s47, v25
	v_add_co_u32_e64 v32, s[28:29], 1, v28
	v_cndmask_b32_e64 v27, 0, -1, vcc
	v_cmp_le_u32_e32 vcc, s46, v24
	v_addc_co_u32_e64 v33, s[28:29], 0, v29, s[28:29]
	v_cndmask_b32_e64 v24, 0, -1, vcc
	v_cmp_eq_u32_e32 vcc, s47, v25
	v_cmp_ne_u32_e64 s[28:29], 0, v26
	v_cndmask_b32_e32 v24, v27, v24, vcc
	v_cndmask_b32_e64 v26, v33, v31, s[28:29]
	v_cmp_ne_u32_e32 vcc, 0, v24
	v_cndmask_b32_e64 v24, v32, v30, s[28:29]
	v_cndmask_b32_e32 v25, v29, v26, vcc
	v_cndmask_b32_e32 v24, v28, v24, vcc
                                        ; implicit-def: $vgpr26
.LBB28_73:
	s_andn2_saveexec_b64 s[28:29], s[36:37]
	s_cbranch_execz .LBB28_75
; %bb.74:
	v_cvt_f32_u32_e32 v24, s46
	s_sub_i32 s36, 0, s46
	v_rcp_iflag_f32_e32 v24, v24
	v_mul_f32_e32 v24, 0x4f7ffffe, v24
	v_cvt_u32_f32_e32 v24, v24
	v_mul_lo_u32 v25, s36, v24
	v_mul_hi_u32 v25, v24, v25
	v_add_u32_e32 v24, v24, v25
	v_mul_hi_u32 v24, v26, v24
	v_mul_lo_u32 v25, v24, s46
	v_sub_u32_e32 v25, v26, v25
	v_add_u32_e32 v27, 1, v24
	v_subrev_u32_e32 v26, s46, v25
	v_cmp_le_u32_e32 vcc, s46, v25
	v_cndmask_b32_e32 v25, v25, v26, vcc
	v_cndmask_b32_e32 v24, v24, v27, vcc
	v_add_u32_e32 v26, 1, v24
	v_cmp_le_u32_e32 vcc, s46, v25
	v_cndmask_b32_e32 v24, v24, v26, vcc
	v_mov_b32_e32 v25, 0
.LBB28_75:
	s_or_b64 exec, exec, s[28:29]
.LBB28_76:
	s_or_b64 exec, exec, s[30:31]
	v_or_b32_e32 v63, 0xc00, v0
	v_cmp_gt_u32_e64 s[28:29], s64, v63
	v_pk_mov_b32 v[26:27], v[54:55], v[54:55] op_sel:[0,1]
	s_and_saveexec_b64 s[36:37], s[28:29]
	s_cbranch_execz .LBB28_82
; %bb.77:
	v_mov_b32_e32 v27, s45
	v_add_co_u32_e32 v28, vcc, s44, v63
	v_addc_co_u32_e32 v29, vcc, 0, v27, vcc
	v_mov_b32_e32 v26, 0
	v_or_b32_e32 v27, s47, v29
	v_cmp_ne_u64_e32 vcc, 0, v[26:27]
                                        ; implicit-def: $vgpr26_vgpr27
	s_and_saveexec_b64 s[30:31], vcc
	s_xor_b64 s[60:61], exec, s[30:31]
	s_cbranch_execz .LBB28_79
; %bb.78:
	v_cvt_f32_u32_e32 v26, s46
	v_cvt_f32_u32_e32 v27, s47
	s_sub_u32 s30, 0, s46
	s_subb_u32 s31, 0, s47
	v_madmk_f32 v26, v27, 0x4f800000, v26
	v_rcp_f32_e32 v26, v26
	v_mul_f32_e32 v26, 0x5f7ffffc, v26
	v_mul_f32_e32 v27, 0x2f800000, v26
	v_trunc_f32_e32 v27, v27
	v_madmk_f32 v26, v27, 0xcf800000, v26
	v_cvt_u32_f32_e32 v27, v27
	v_cvt_u32_f32_e32 v26, v26
	v_mul_lo_u32 v30, s30, v27
	v_mul_hi_u32 v32, s30, v26
	v_mul_lo_u32 v31, s31, v26
	v_add_u32_e32 v30, v32, v30
	v_mul_lo_u32 v33, s30, v26
	v_add_u32_e32 v30, v30, v31
	v_mul_hi_u32 v32, v26, v33
	v_mul_lo_u32 v34, v26, v30
	v_mul_hi_u32 v31, v26, v30
	v_add_co_u32_e32 v32, vcc, v32, v34
	v_addc_co_u32_e32 v31, vcc, 0, v31, vcc
	v_mul_hi_u32 v35, v27, v33
	v_mul_lo_u32 v33, v27, v33
	v_add_co_u32_e32 v32, vcc, v32, v33
	v_mul_hi_u32 v34, v27, v30
	v_addc_co_u32_e32 v31, vcc, v31, v35, vcc
	v_addc_co_u32_e32 v32, vcc, 0, v34, vcc
	v_mul_lo_u32 v30, v27, v30
	v_add_co_u32_e32 v30, vcc, v31, v30
	v_addc_co_u32_e32 v31, vcc, 0, v32, vcc
	v_add_co_u32_e32 v26, vcc, v26, v30
	v_addc_co_u32_e32 v27, vcc, v27, v31, vcc
	v_mul_lo_u32 v30, s30, v27
	v_mul_hi_u32 v31, s30, v26
	v_add_u32_e32 v30, v31, v30
	v_mul_lo_u32 v31, s31, v26
	v_add_u32_e32 v30, v30, v31
	v_mul_lo_u32 v32, s30, v26
	v_mul_hi_u32 v33, v27, v32
	v_mul_lo_u32 v34, v27, v32
	v_mul_lo_u32 v36, v26, v30
	v_mul_hi_u32 v32, v26, v32
	v_mul_hi_u32 v35, v26, v30
	v_add_co_u32_e32 v32, vcc, v32, v36
	v_addc_co_u32_e32 v35, vcc, 0, v35, vcc
	v_add_co_u32_e32 v32, vcc, v32, v34
	v_mul_hi_u32 v31, v27, v30
	v_addc_co_u32_e32 v32, vcc, v35, v33, vcc
	v_addc_co_u32_e32 v31, vcc, 0, v31, vcc
	v_mul_lo_u32 v30, v27, v30
	v_add_co_u32_e32 v30, vcc, v32, v30
	v_addc_co_u32_e32 v31, vcc, 0, v31, vcc
	v_add_co_u32_e32 v30, vcc, v26, v30
	v_addc_co_u32_e32 v31, vcc, v27, v31, vcc
	v_mad_u64_u32 v[26:27], s[30:31], v28, v31, 0
	v_mul_hi_u32 v32, v28, v30
	v_add_co_u32_e32 v32, vcc, v32, v26
	v_addc_co_u32_e32 v33, vcc, 0, v27, vcc
	v_mad_u64_u32 v[26:27], s[30:31], v29, v31, 0
	v_mad_u64_u32 v[30:31], s[30:31], v29, v30, 0
	v_add_co_u32_e32 v30, vcc, v32, v30
	v_addc_co_u32_e32 v30, vcc, v33, v31, vcc
	v_addc_co_u32_e32 v27, vcc, 0, v27, vcc
	v_add_co_u32_e32 v30, vcc, v30, v26
	v_addc_co_u32_e32 v31, vcc, 0, v27, vcc
	v_mul_lo_u32 v32, s47, v30
	v_mul_lo_u32 v33, s46, v31
	v_mad_u64_u32 v[26:27], s[30:31], s46, v30, 0
	v_add3_u32 v27, v27, v33, v32
	v_sub_u32_e32 v32, v29, v27
	v_mov_b32_e32 v33, s47
	v_sub_co_u32_e32 v26, vcc, v28, v26
	v_subb_co_u32_e64 v28, s[30:31], v32, v33, vcc
	v_subrev_co_u32_e64 v32, s[30:31], s46, v26
	v_subbrev_co_u32_e64 v28, s[30:31], 0, v28, s[30:31]
	v_cmp_le_u32_e64 s[30:31], s47, v28
	v_cndmask_b32_e64 v33, 0, -1, s[30:31]
	v_cmp_le_u32_e64 s[30:31], s46, v32
	v_cndmask_b32_e64 v32, 0, -1, s[30:31]
	v_cmp_eq_u32_e64 s[30:31], s47, v28
	v_cndmask_b32_e64 v28, v33, v32, s[30:31]
	v_add_co_u32_e64 v32, s[30:31], 2, v30
	v_subb_co_u32_e32 v27, vcc, v29, v27, vcc
	v_addc_co_u32_e64 v33, s[30:31], 0, v31, s[30:31]
	v_cmp_le_u32_e32 vcc, s47, v27
	v_add_co_u32_e64 v34, s[30:31], 1, v30
	v_cndmask_b32_e64 v29, 0, -1, vcc
	v_cmp_le_u32_e32 vcc, s46, v26
	v_addc_co_u32_e64 v35, s[30:31], 0, v31, s[30:31]
	v_cndmask_b32_e64 v26, 0, -1, vcc
	v_cmp_eq_u32_e32 vcc, s47, v27
	v_cmp_ne_u32_e64 s[30:31], 0, v28
	v_cndmask_b32_e32 v26, v29, v26, vcc
	v_cndmask_b32_e64 v28, v35, v33, s[30:31]
	v_cmp_ne_u32_e32 vcc, 0, v26
	v_cndmask_b32_e64 v26, v34, v32, s[30:31]
	v_cndmask_b32_e32 v27, v31, v28, vcc
	v_cndmask_b32_e32 v26, v30, v26, vcc
                                        ; implicit-def: $vgpr28
.LBB28_79:
	s_andn2_saveexec_b64 s[30:31], s[60:61]
	s_cbranch_execz .LBB28_81
; %bb.80:
	v_cvt_f32_u32_e32 v26, s46
	s_sub_i32 s60, 0, s46
	v_rcp_iflag_f32_e32 v26, v26
	v_mul_f32_e32 v26, 0x4f7ffffe, v26
	v_cvt_u32_f32_e32 v26, v26
	v_mul_lo_u32 v27, s60, v26
	v_mul_hi_u32 v27, v26, v27
	v_add_u32_e32 v26, v26, v27
	v_mul_hi_u32 v26, v28, v26
	v_mul_lo_u32 v27, v26, s46
	v_sub_u32_e32 v27, v28, v27
	v_add_u32_e32 v29, 1, v26
	v_subrev_u32_e32 v28, s46, v27
	v_cmp_le_u32_e32 vcc, s46, v27
	v_cndmask_b32_e32 v27, v27, v28, vcc
	v_cndmask_b32_e32 v26, v26, v29, vcc
	v_add_u32_e32 v28, 1, v26
	v_cmp_le_u32_e32 vcc, s46, v27
	v_cndmask_b32_e32 v26, v26, v28, vcc
	v_mov_b32_e32 v27, 0
.LBB28_81:
	s_or_b64 exec, exec, s[30:31]
.LBB28_82:
	s_or_b64 exec, exec, s[36:37]
	v_or_b32_e32 v64, 0xd00, v0
	v_cmp_gt_u32_e64 s[30:31], s64, v64
	v_pk_mov_b32 v[28:29], v[54:55], v[54:55] op_sel:[0,1]
	s_and_saveexec_b64 s[60:61], s[30:31]
	s_cbranch_execz .LBB28_88
; %bb.83:
	v_mov_b32_e32 v29, s45
	v_add_co_u32_e32 v30, vcc, s44, v64
	v_addc_co_u32_e32 v31, vcc, 0, v29, vcc
	v_mov_b32_e32 v28, 0
	v_or_b32_e32 v29, s47, v31
	v_cmp_ne_u64_e32 vcc, 0, v[28:29]
                                        ; implicit-def: $vgpr28_vgpr29
	s_and_saveexec_b64 s[36:37], vcc
	s_xor_b64 s[62:63], exec, s[36:37]
	s_cbranch_execz .LBB28_85
; %bb.84:
	v_cvt_f32_u32_e32 v28, s46
	v_cvt_f32_u32_e32 v29, s47
	s_sub_u32 s36, 0, s46
	s_subb_u32 s37, 0, s47
	v_madmk_f32 v28, v29, 0x4f800000, v28
	v_rcp_f32_e32 v28, v28
	v_mul_f32_e32 v28, 0x5f7ffffc, v28
	v_mul_f32_e32 v29, 0x2f800000, v28
	v_trunc_f32_e32 v29, v29
	v_madmk_f32 v28, v29, 0xcf800000, v28
	v_cvt_u32_f32_e32 v29, v29
	v_cvt_u32_f32_e32 v28, v28
	v_mul_lo_u32 v32, s36, v29
	v_mul_hi_u32 v34, s36, v28
	v_mul_lo_u32 v33, s37, v28
	v_add_u32_e32 v32, v34, v32
	v_mul_lo_u32 v35, s36, v28
	v_add_u32_e32 v32, v32, v33
	v_mul_hi_u32 v34, v28, v35
	v_mul_lo_u32 v36, v28, v32
	v_mul_hi_u32 v33, v28, v32
	v_add_co_u32_e32 v34, vcc, v34, v36
	v_addc_co_u32_e32 v33, vcc, 0, v33, vcc
	v_mul_hi_u32 v37, v29, v35
	v_mul_lo_u32 v35, v29, v35
	v_add_co_u32_e32 v34, vcc, v34, v35
	v_mul_hi_u32 v36, v29, v32
	v_addc_co_u32_e32 v33, vcc, v33, v37, vcc
	v_addc_co_u32_e32 v34, vcc, 0, v36, vcc
	v_mul_lo_u32 v32, v29, v32
	v_add_co_u32_e32 v32, vcc, v33, v32
	v_addc_co_u32_e32 v33, vcc, 0, v34, vcc
	v_add_co_u32_e32 v28, vcc, v28, v32
	v_addc_co_u32_e32 v29, vcc, v29, v33, vcc
	v_mul_lo_u32 v32, s36, v29
	v_mul_hi_u32 v33, s36, v28
	v_add_u32_e32 v32, v33, v32
	v_mul_lo_u32 v33, s37, v28
	v_add_u32_e32 v32, v32, v33
	v_mul_lo_u32 v34, s36, v28
	v_mul_hi_u32 v35, v29, v34
	v_mul_lo_u32 v36, v29, v34
	v_mul_lo_u32 v38, v28, v32
	v_mul_hi_u32 v34, v28, v34
	v_mul_hi_u32 v37, v28, v32
	v_add_co_u32_e32 v34, vcc, v34, v38
	v_addc_co_u32_e32 v37, vcc, 0, v37, vcc
	v_add_co_u32_e32 v34, vcc, v34, v36
	v_mul_hi_u32 v33, v29, v32
	v_addc_co_u32_e32 v34, vcc, v37, v35, vcc
	v_addc_co_u32_e32 v33, vcc, 0, v33, vcc
	v_mul_lo_u32 v32, v29, v32
	v_add_co_u32_e32 v32, vcc, v34, v32
	v_addc_co_u32_e32 v33, vcc, 0, v33, vcc
	v_add_co_u32_e32 v32, vcc, v28, v32
	v_addc_co_u32_e32 v33, vcc, v29, v33, vcc
	v_mad_u64_u32 v[28:29], s[36:37], v30, v33, 0
	v_mul_hi_u32 v34, v30, v32
	v_add_co_u32_e32 v34, vcc, v34, v28
	v_addc_co_u32_e32 v35, vcc, 0, v29, vcc
	v_mad_u64_u32 v[28:29], s[36:37], v31, v33, 0
	v_mad_u64_u32 v[32:33], s[36:37], v31, v32, 0
	v_add_co_u32_e32 v32, vcc, v34, v32
	v_addc_co_u32_e32 v32, vcc, v35, v33, vcc
	v_addc_co_u32_e32 v29, vcc, 0, v29, vcc
	v_add_co_u32_e32 v32, vcc, v32, v28
	v_addc_co_u32_e32 v33, vcc, 0, v29, vcc
	v_mul_lo_u32 v34, s47, v32
	v_mul_lo_u32 v35, s46, v33
	v_mad_u64_u32 v[28:29], s[36:37], s46, v32, 0
	v_add3_u32 v29, v29, v35, v34
	v_sub_u32_e32 v34, v31, v29
	v_mov_b32_e32 v35, s47
	v_sub_co_u32_e32 v28, vcc, v30, v28
	v_subb_co_u32_e64 v30, s[36:37], v34, v35, vcc
	v_subrev_co_u32_e64 v34, s[36:37], s46, v28
	v_subbrev_co_u32_e64 v30, s[36:37], 0, v30, s[36:37]
	v_cmp_le_u32_e64 s[36:37], s47, v30
	v_cndmask_b32_e64 v35, 0, -1, s[36:37]
	v_cmp_le_u32_e64 s[36:37], s46, v34
	v_cndmask_b32_e64 v34, 0, -1, s[36:37]
	v_cmp_eq_u32_e64 s[36:37], s47, v30
	v_cndmask_b32_e64 v30, v35, v34, s[36:37]
	v_add_co_u32_e64 v34, s[36:37], 2, v32
	v_subb_co_u32_e32 v29, vcc, v31, v29, vcc
	v_addc_co_u32_e64 v35, s[36:37], 0, v33, s[36:37]
	v_cmp_le_u32_e32 vcc, s47, v29
	v_add_co_u32_e64 v36, s[36:37], 1, v32
	v_cndmask_b32_e64 v31, 0, -1, vcc
	v_cmp_le_u32_e32 vcc, s46, v28
	v_addc_co_u32_e64 v37, s[36:37], 0, v33, s[36:37]
	v_cndmask_b32_e64 v28, 0, -1, vcc
	v_cmp_eq_u32_e32 vcc, s47, v29
	v_cmp_ne_u32_e64 s[36:37], 0, v30
	v_cndmask_b32_e32 v28, v31, v28, vcc
	v_cndmask_b32_e64 v30, v37, v35, s[36:37]
	v_cmp_ne_u32_e32 vcc, 0, v28
	v_cndmask_b32_e64 v28, v36, v34, s[36:37]
	v_cndmask_b32_e32 v29, v33, v30, vcc
	v_cndmask_b32_e32 v28, v32, v28, vcc
                                        ; implicit-def: $vgpr30
.LBB28_85:
	s_andn2_saveexec_b64 s[36:37], s[62:63]
	s_cbranch_execz .LBB28_87
; %bb.86:
	v_cvt_f32_u32_e32 v28, s46
	s_sub_i32 s62, 0, s46
	v_rcp_iflag_f32_e32 v28, v28
	v_mul_f32_e32 v28, 0x4f7ffffe, v28
	v_cvt_u32_f32_e32 v28, v28
	v_mul_lo_u32 v29, s62, v28
	v_mul_hi_u32 v29, v28, v29
	v_add_u32_e32 v28, v28, v29
	v_mul_hi_u32 v28, v30, v28
	v_mul_lo_u32 v29, v28, s46
	v_sub_u32_e32 v29, v30, v29
	v_add_u32_e32 v31, 1, v28
	v_subrev_u32_e32 v30, s46, v29
	v_cmp_le_u32_e32 vcc, s46, v29
	v_cndmask_b32_e32 v29, v29, v30, vcc
	v_cndmask_b32_e32 v28, v28, v31, vcc
	v_add_u32_e32 v30, 1, v28
	v_cmp_le_u32_e32 vcc, s46, v29
	v_cndmask_b32_e32 v28, v28, v30, vcc
	v_mov_b32_e32 v29, 0
.LBB28_87:
	s_or_b64 exec, exec, s[36:37]
.LBB28_88:
	s_or_b64 exec, exec, s[60:61]
	v_lshlrev_b32_e32 v30, 3, v0
	s_movk_i32 s36, 0x68
	ds_write2st64_b64 v30, v[2:3], v[4:5] offset1:4
	ds_write2st64_b64 v30, v[6:7], v[8:9] offset0:8 offset1:12
	ds_write2st64_b64 v30, v[10:11], v[12:13] offset0:16 offset1:20
	;; [unrolled: 1-line block ×6, first 2 shown]
	v_mad_u32_u24 v2, v0, s36, v30
	s_waitcnt lgkmcnt(0)
	s_barrier
	ds_read_b128 v[50:53], v2
	ds_read_b128 v[46:49], v2 offset:16
	ds_read_b128 v[42:45], v2 offset:32
	;; [unrolled: 1-line block ×6, first 2 shown]
	s_cmp_eq_u64 s[48:49], 0
	s_cbranch_scc1 .LBB28_97
; %bb.89:
	s_andn2_b64 vcc, exec, s[50:51]
	s_cbranch_vccnz .LBB28_93
; %bb.90:
	s_lshl_b64 s[36:37], s[48:49], 3
	s_add_u32 s36, s42, s36
	s_addc_u32 s37, s43, s37
	s_add_u32 s36, s36, -8
	s_addc_u32 s37, s37, -1
	s_load_dwordx2 s[36:37], s[36:37], 0x0
	s_waitcnt lgkmcnt(0)
	v_pk_mov_b32 v[54:55], s[36:37], s[36:37] op_sel:[0,1]
	s_cbranch_execz .LBB28_94
	s_branch .LBB28_97
.LBB28_91:
                                        ; implicit-def: $sgpr2_sgpr3
                                        ; implicit-def: $vgpr2_vgpr3_vgpr4_vgpr5_vgpr6_vgpr7_vgpr8_vgpr9
                                        ; implicit-def: $vgpr10_vgpr11_vgpr12_vgpr13_vgpr14_vgpr15_vgpr16_vgpr17
                                        ; implicit-def: $vgpr18_vgpr19_vgpr20_vgpr21_vgpr22_vgpr23_vgpr24_vgpr25
                                        ; implicit-def: $vgpr59
                                        ; implicit-def: $vgpr56_vgpr57
	s_and_b64 vcc, exec, s[16:17]
	s_cbranch_vccnz .LBB28_141
	s_branch .LBB28_225
.LBB28_92:
                                        ; implicit-def: $vgpr54_vgpr55
	s_branch .LBB28_3
.LBB28_93:
                                        ; implicit-def: $sgpr36_sgpr37
	v_pk_mov_b32 v[54:55], s[36:37], s[36:37] op_sel:[0,1]
.LBB28_94:
	s_add_u32 s60, s44, -1
	s_addc_u32 s61, s45, -1
	s_or_b64 s[36:37], s[60:61], s[46:47]
	s_mov_b32 s36, 0
	s_cmp_lg_u64 s[36:37], 0
	s_mov_b64 s[62:63], -1
	s_cbranch_scc0 .LBB28_310
; %bb.95:
	v_cvt_f32_u32_e32 v3, s46
	v_cvt_f32_u32_e32 v4, s47
	s_sub_u32 s36, 0, s46
	s_subb_u32 s37, 0, s47
	v_madmk_f32 v3, v4, 0x4f800000, v3
	v_rcp_f32_e32 v3, v3
	v_mul_f32_e32 v3, 0x5f7ffffc, v3
	v_mul_f32_e32 v4, 0x2f800000, v3
	v_trunc_f32_e32 v4, v4
	v_madmk_f32 v3, v4, 0xcf800000, v3
	v_cvt_u32_f32_e32 v4, v4
	v_cvt_u32_f32_e32 v3, v3
	v_readfirstlane_b32 s65, v4
	v_readfirstlane_b32 s66, v3
	s_mul_i32 s67, s36, s65
	s_mul_hi_u32 s69, s36, s66
	s_mul_i32 s68, s37, s66
	s_add_i32 s67, s69, s67
	s_add_i32 s67, s67, s68
	s_mul_i32 s70, s36, s66
	s_mul_hi_u32 s68, s66, s67
	s_mul_i32 s69, s66, s67
	s_mul_hi_u32 s66, s66, s70
	s_add_u32 s66, s66, s69
	s_addc_u32 s68, 0, s68
	s_mul_hi_u32 s71, s65, s70
	s_mul_i32 s70, s65, s70
	s_add_u32 s66, s66, s70
	s_mul_hi_u32 s69, s65, s67
	s_addc_u32 s66, s68, s71
	s_addc_u32 s68, s69, 0
	s_mul_i32 s67, s65, s67
	s_add_u32 s66, s66, s67
	s_addc_u32 s67, 0, s68
	v_add_co_u32_e32 v3, vcc, s66, v3
	s_cmp_lg_u64 vcc, 0
	s_addc_u32 s65, s65, s67
	v_readfirstlane_b32 s67, v3
	s_mul_i32 s66, s36, s65
	s_mul_hi_u32 s68, s36, s67
	s_add_i32 s66, s68, s66
	s_mul_i32 s37, s37, s67
	s_add_i32 s66, s66, s37
	s_mul_i32 s36, s36, s67
	s_mul_hi_u32 s68, s65, s36
	s_mul_i32 s69, s65, s36
	s_mul_i32 s71, s67, s66
	s_mul_hi_u32 s36, s67, s36
	s_mul_hi_u32 s70, s67, s66
	s_add_u32 s36, s36, s71
	s_addc_u32 s67, 0, s70
	s_add_u32 s36, s36, s69
	s_mul_hi_u32 s37, s65, s66
	s_addc_u32 s36, s67, s68
	s_addc_u32 s37, s37, 0
	s_mul_i32 s66, s65, s66
	s_add_u32 s36, s36, s66
	s_addc_u32 s37, 0, s37
	v_add_co_u32_e32 v3, vcc, s36, v3
	s_cmp_lg_u64 vcc, 0
	s_addc_u32 s36, s65, s37
	v_readfirstlane_b32 s66, v3
	s_mul_i32 s65, s60, s36
	s_mul_hi_u32 s67, s60, s66
	s_mul_hi_u32 s37, s60, s36
	s_add_u32 s65, s67, s65
	s_addc_u32 s37, 0, s37
	s_mul_hi_u32 s68, s61, s66
	s_mul_i32 s66, s61, s66
	s_add_u32 s65, s65, s66
	s_mul_hi_u32 s67, s61, s36
	s_addc_u32 s37, s37, s68
	s_addc_u32 s65, s67, 0
	s_mul_i32 s36, s61, s36
	s_add_u32 s66, s37, s36
	s_addc_u32 s65, 0, s65
	s_mul_i32 s36, s46, s65
	s_mul_hi_u32 s37, s46, s66
	s_add_i32 s36, s37, s36
	s_mul_i32 s37, s47, s66
	s_add_i32 s67, s36, s37
	s_mul_i32 s37, s46, s66
	v_mov_b32_e32 v3, s37
	s_sub_i32 s36, s61, s67
	v_sub_co_u32_e32 v3, vcc, s60, v3
	s_cmp_lg_u64 vcc, 0
	s_subb_u32 s68, s36, s47
	v_subrev_co_u32_e64 v4, s[36:37], s46, v3
	s_cmp_lg_u64 s[36:37], 0
	s_subb_u32 s68, s68, 0
	s_cmp_ge_u32 s68, s47
	s_cselect_b32 s69, -1, 0
	v_cmp_le_u32_e64 s[36:37], s46, v4
	s_cmp_eq_u32 s68, s47
	v_cndmask_b32_e64 v4, 0, -1, s[36:37]
	v_mov_b32_e32 v5, s69
	s_cselect_b64 s[36:37], -1, 0
	v_cndmask_b32_e64 v4, v5, v4, s[36:37]
	s_add_u32 s36, s66, 1
	s_addc_u32 s68, s65, 0
	s_add_u32 s37, s66, 2
	s_addc_u32 s69, s65, 0
	v_mov_b32_e32 v5, s36
	v_mov_b32_e32 v6, s37
	v_cmp_ne_u32_e64 s[36:37], 0, v4
	v_cndmask_b32_e64 v4, v5, v6, s[36:37]
	v_mov_b32_e32 v5, s68
	v_mov_b32_e32 v6, s69
	s_cmp_lg_u64 vcc, 0
	v_cndmask_b32_e64 v5, v5, v6, s[36:37]
	s_subb_u32 s36, s61, s67
	s_cmp_ge_u32 s36, s47
	s_cselect_b32 s37, -1, 0
	v_cmp_le_u32_e32 vcc, s46, v3
	s_cmp_eq_u32 s36, s47
	v_cndmask_b32_e64 v3, 0, -1, vcc
	v_mov_b32_e32 v6, s37
	s_cselect_b64 vcc, -1, 0
	v_cndmask_b32_e32 v3, v6, v3, vcc
	v_mov_b32_e32 v6, s65
	v_cmp_ne_u32_e32 vcc, 0, v3
	v_mov_b32_e32 v3, s66
	v_cndmask_b32_e32 v55, v6, v5, vcc
	v_cndmask_b32_e32 v54, v3, v4, vcc
	s_cbranch_execnz .LBB28_97
.LBB28_96:
	v_cvt_f32_u32_e32 v3, s46
	s_sub_i32 s36, 0, s46
	s_mov_b32 s37, 0
	v_rcp_iflag_f32_e32 v3, v3
	v_mul_f32_e32 v3, 0x4f7ffffe, v3
	v_cvt_u32_f32_e32 v3, v3
	v_readfirstlane_b32 s61, v3
	s_mul_i32 s36, s36, s61
	s_mul_hi_u32 s36, s61, s36
	s_add_i32 s61, s61, s36
	s_mul_hi_u32 s36, s60, s61
	s_mul_i32 s62, s36, s46
	s_sub_i32 s60, s60, s62
	s_add_i32 s61, s36, 1
	s_sub_i32 s62, s60, s46
	s_cmp_ge_u32 s60, s46
	s_cselect_b32 s36, s61, s36
	s_cselect_b32 s60, s62, s60
	s_add_i32 s61, s36, 1
	s_cmp_ge_u32 s60, s46
	s_cselect_b32 s36, s61, s36
	v_pk_mov_b32 v[54:55], s[36:37], s[36:37] op_sel:[0,1]
.LBB28_97:
	s_movk_i32 s36, 0xff98
	v_mad_i32_i24 v2, v0, s36, v2
	v_cmp_ne_u32_e32 vcc, 0, v0
	s_waitcnt lgkmcnt(0)
	ds_write_b64 v2, v[32:33] offset:28672
	s_waitcnt lgkmcnt(0)
	s_barrier
	s_and_saveexec_b64 s[36:37], vcc
	s_cbranch_execz .LBB28_99
; %bb.98:
	ds_read_b64 v[54:55], v2 offset:28664
.LBB28_99:
	s_or_b64 exec, exec, s[36:37]
	s_waitcnt lgkmcnt(0)
	s_barrier
	s_waitcnt lgkmcnt(0)
                                        ; implicit-def: $vgpr3
	s_and_saveexec_b64 s[36:37], s[2:3]
	s_cbranch_execnz .LBB28_200
; %bb.100:
	s_or_b64 exec, exec, s[36:37]
                                        ; implicit-def: $vgpr4
	s_and_saveexec_b64 s[2:3], s[34:35]
	s_cbranch_execnz .LBB28_201
.LBB28_101:
	s_or_b64 exec, exec, s[2:3]
                                        ; implicit-def: $vgpr5
	s_and_saveexec_b64 s[2:3], s[8:9]
	s_cbranch_execnz .LBB28_202
.LBB28_102:
	s_or_b64 exec, exec, s[2:3]
                                        ; implicit-def: $vgpr6
	s_and_saveexec_b64 s[2:3], s[10:11]
	s_cbranch_execnz .LBB28_203
.LBB28_103:
	s_or_b64 exec, exec, s[2:3]
                                        ; implicit-def: $vgpr7
	s_and_saveexec_b64 s[2:3], s[12:13]
	s_cbranch_execnz .LBB28_204
.LBB28_104:
	s_or_b64 exec, exec, s[2:3]
                                        ; implicit-def: $vgpr8
	s_and_saveexec_b64 s[2:3], s[14:15]
	s_cbranch_execnz .LBB28_205
.LBB28_105:
	s_or_b64 exec, exec, s[2:3]
                                        ; implicit-def: $vgpr9
	s_and_saveexec_b64 s[2:3], s[16:17]
	s_cbranch_execnz .LBB28_206
.LBB28_106:
	s_or_b64 exec, exec, s[2:3]
                                        ; implicit-def: $vgpr10
	s_and_saveexec_b64 s[2:3], s[18:19]
	s_cbranch_execnz .LBB28_207
.LBB28_107:
	s_or_b64 exec, exec, s[2:3]
                                        ; implicit-def: $vgpr11
	s_and_saveexec_b64 s[2:3], s[20:21]
	s_cbranch_execnz .LBB28_208
.LBB28_108:
	s_or_b64 exec, exec, s[2:3]
                                        ; implicit-def: $vgpr12
	s_and_saveexec_b64 s[2:3], s[22:23]
	s_cbranch_execnz .LBB28_209
.LBB28_109:
	s_or_b64 exec, exec, s[2:3]
                                        ; implicit-def: $vgpr13
	s_and_saveexec_b64 s[2:3], s[24:25]
	s_cbranch_execnz .LBB28_210
.LBB28_110:
	s_or_b64 exec, exec, s[2:3]
                                        ; implicit-def: $vgpr14
	s_and_saveexec_b64 s[2:3], s[26:27]
	s_cbranch_execnz .LBB28_211
.LBB28_111:
	s_or_b64 exec, exec, s[2:3]
                                        ; implicit-def: $vgpr15
	s_and_saveexec_b64 s[2:3], s[28:29]
	s_cbranch_execnz .LBB28_212
.LBB28_112:
	s_or_b64 exec, exec, s[2:3]
                                        ; implicit-def: $vgpr16
	s_and_saveexec_b64 s[2:3], s[30:31]
	s_cbranch_execz .LBB28_114
.LBB28_113:
	v_lshlrev_b32_e32 v1, 2, v64
	v_mov_b32_e32 v17, s55
	v_add_co_u32_e32 v16, vcc, s7, v1
	v_addc_co_u32_e32 v17, vcc, 0, v17, vcc
	flat_load_dword v16, v[16:17]
.LBB28_114:
	s_or_b64 exec, exec, s[2:3]
	v_lshlrev_b32_e32 v17, 2, v0
	s_mov_b32 s8, 0
	v_sub_u32_e32 v58, v2, v17
	s_mov_b32 s9, s8
	s_waitcnt vmcnt(0) lgkmcnt(0)
	ds_write2st64_b32 v58, v3, v4 offset1:4
	ds_write2st64_b32 v58, v5, v6 offset0:8 offset1:12
	ds_write2st64_b32 v58, v7, v8 offset0:16 offset1:20
	;; [unrolled: 1-line block ×6, first 2 shown]
	s_mov_b32 s10, s8
	s_mov_b32 s11, s8
	;; [unrolled: 1-line block ×6, first 2 shown]
	v_pk_mov_b32 v[2:3], s[8:9], s[8:9] op_sel:[0,1]
	v_pk_mov_b32 v[8:9], s[14:15], s[14:15] op_sel:[0,1]
	v_mul_u32_u24_e32 v1, 14, v0
	v_pk_mov_b32 v[4:5], s[10:11], s[10:11] op_sel:[0,1]
	v_pk_mov_b32 v[6:7], s[12:13], s[12:13] op_sel:[0,1]
	;; [unrolled: 1-line block ×4, first 2 shown]
	v_cmp_gt_u32_e32 vcc, s64, v1
	s_mov_b64 s[16:17], 0
	v_pk_mov_b32 v[56:57], 0, 0
	s_mov_b64 s[20:21], 0
	v_pk_mov_b32 v[14:15], v[6:7], v[6:7] op_sel:[0,1]
	v_pk_mov_b32 v[12:13], v[4:5], v[4:5] op_sel:[0,1]
	;; [unrolled: 1-line block ×6, first 2 shown]
	s_waitcnt lgkmcnt(0)
	s_barrier
	s_waitcnt lgkmcnt(0)
                                        ; implicit-def: $sgpr2_sgpr3
                                        ; implicit-def: $vgpr59
	s_and_saveexec_b64 s[18:19], vcc
	s_cbranch_execz .LBB28_140
; %bb.115:
	v_mad_u32_u24 v3, v0, 52, v58
	v_or_b32_e32 v2, 1, v1
	ds_read_b32 v56, v3
	v_cmp_ne_u64_e32 vcc, v[54:55], v[50:51]
	v_cndmask_b32_e64 v57, 0, 1, vcc
	v_cmp_gt_u32_e32 vcc, s64, v2
	v_pk_mov_b32 v[2:3], s[8:9], s[8:9] op_sel:[0,1]
	v_pk_mov_b32 v[8:9], s[14:15], s[14:15] op_sel:[0,1]
	;; [unrolled: 1-line block ×6, first 2 shown]
	s_mov_b64 s[22:23], 0
	v_pk_mov_b32 v[14:15], v[6:7], v[6:7] op_sel:[0,1]
	v_pk_mov_b32 v[12:13], v[4:5], v[4:5] op_sel:[0,1]
	;; [unrolled: 1-line block ×6, first 2 shown]
                                        ; implicit-def: $sgpr8_sgpr9
                                        ; implicit-def: $vgpr59
	s_and_saveexec_b64 s[20:21], vcc
	s_cbranch_execz .LBB28_139
; %bb.116:
	v_mul_u32_u24_e32 v2, 52, v0
	v_add_u32_e32 v58, v58, v2
	ds_read2_b32 v[54:55], v58 offset0:1 offset1:2
	s_mov_b32 s8, 0
	s_mov_b32 s14, s8
	;; [unrolled: 1-line block ×8, first 2 shown]
	v_pk_mov_b32 v[16:17], s[14:15], s[14:15] op_sel:[0,1]
	v_add_u32_e32 v2, 2, v1
	v_cmp_ne_u64_e32 vcc, v[50:51], v[52:53]
	v_mov_b32_e32 v6, 0
	v_pk_mov_b32 v[14:15], s[12:13], s[12:13] op_sel:[0,1]
	v_pk_mov_b32 v[12:13], s[10:11], s[10:11] op_sel:[0,1]
	;; [unrolled: 1-line block ×4, first 2 shown]
	v_cndmask_b32_e64 v3, 0, 1, vcc
	v_cmp_gt_u32_e32 vcc, s64, v2
	s_waitcnt lgkmcnt(0)
	v_mov_b32_e32 v2, v54
	v_mov_b32_e32 v4, v6
	;; [unrolled: 1-line block ×6, first 2 shown]
	s_mov_b64 s[2:3], 0
	v_pk_mov_b32 v[22:23], v[14:15], v[14:15] op_sel:[0,1]
	v_pk_mov_b32 v[20:21], v[12:13], v[12:13] op_sel:[0,1]
	;; [unrolled: 1-line block ×3, first 2 shown]
                                        ; implicit-def: $sgpr24_sgpr25
                                        ; implicit-def: $vgpr59
	s_and_saveexec_b64 s[22:23], vcc
	s_cbranch_execz .LBB28_138
; %bb.117:
	v_pk_mov_b32 v[16:17], s[14:15], s[14:15] op_sel:[0,1]
	v_add_u32_e32 v2, 3, v1
	v_cmp_ne_u64_e32 vcc, v[52:53], v[46:47]
	v_pk_mov_b32 v[14:15], s[12:13], s[12:13] op_sel:[0,1]
	v_pk_mov_b32 v[12:13], s[10:11], s[10:11] op_sel:[0,1]
	;; [unrolled: 1-line block ×4, first 2 shown]
	v_cndmask_b32_e64 v5, 0, 1, vcc
	v_cmp_gt_u32_e32 vcc, s64, v2
	v_mov_b32_e32 v2, v54
	v_mov_b32_e32 v4, v55
	;; [unrolled: 1-line block ×5, first 2 shown]
	v_pk_mov_b32 v[22:23], v[14:15], v[14:15] op_sel:[0,1]
	v_pk_mov_b32 v[20:21], v[12:13], v[12:13] op_sel:[0,1]
	;; [unrolled: 1-line block ×3, first 2 shown]
                                        ; implicit-def: $sgpr8_sgpr9
                                        ; implicit-def: $vgpr59
	s_and_saveexec_b64 s[24:25], vcc
	s_cbranch_execz .LBB28_137
; %bb.118:
	ds_read2_b32 v[50:51], v58 offset0:3 offset1:4
	s_mov_b32 s8, 0
	s_mov_b32 s14, s8
	;; [unrolled: 1-line block ×8, first 2 shown]
	v_pk_mov_b32 v[16:17], s[14:15], s[14:15] op_sel:[0,1]
	v_add_u32_e32 v6, 4, v1
	v_cmp_ne_u64_e32 vcc, v[46:47], v[48:49]
	v_pk_mov_b32 v[14:15], s[12:13], s[12:13] op_sel:[0,1]
	v_pk_mov_b32 v[12:13], s[10:11], s[10:11] op_sel:[0,1]
	v_pk_mov_b32 v[10:11], s[8:9], s[8:9] op_sel:[0,1]
	v_pk_mov_b32 v[24:25], v[16:17], v[16:17] op_sel:[0,1]
	v_cndmask_b32_e64 v7, 0, 1, vcc
	v_cmp_gt_u32_e32 vcc, s64, v6
	s_waitcnt lgkmcnt(0)
	v_mov_b32_e32 v6, v50
	v_mov_b32_e32 v8, s8
	v_mov_b32_e32 v9, s8
	v_pk_mov_b32 v[22:23], v[14:15], v[14:15] op_sel:[0,1]
	v_pk_mov_b32 v[20:21], v[12:13], v[12:13] op_sel:[0,1]
	;; [unrolled: 1-line block ×3, first 2 shown]
                                        ; implicit-def: $sgpr28_sgpr29
                                        ; implicit-def: $vgpr59
	s_and_saveexec_b64 s[26:27], vcc
	s_cbranch_execz .LBB28_136
; %bb.119:
	v_pk_mov_b32 v[16:17], s[14:15], s[14:15] op_sel:[0,1]
	v_add_u32_e32 v8, 5, v1
	v_cmp_ne_u64_e32 vcc, v[48:49], v[42:43]
	v_pk_mov_b32 v[14:15], s[12:13], s[12:13] op_sel:[0,1]
	v_pk_mov_b32 v[12:13], s[10:11], s[10:11] op_sel:[0,1]
	;; [unrolled: 1-line block ×4, first 2 shown]
	v_cndmask_b32_e64 v9, 0, 1, vcc
	v_cmp_gt_u32_e32 vcc, s64, v8
	v_mov_b32_e32 v8, v51
	v_pk_mov_b32 v[22:23], v[14:15], v[14:15] op_sel:[0,1]
	v_pk_mov_b32 v[20:21], v[12:13], v[12:13] op_sel:[0,1]
	;; [unrolled: 1-line block ×3, first 2 shown]
                                        ; implicit-def: $sgpr8_sgpr9
                                        ; implicit-def: $vgpr59
	s_and_saveexec_b64 s[28:29], vcc
	s_cbranch_execz .LBB28_135
; %bb.120:
	ds_read2_b32 v[46:47], v58 offset0:5 offset1:6
	s_mov_b32 s8, 0
	s_mov_b32 s14, s8
	s_mov_b32 s15, s8
	v_add_u32_e32 v10, 6, v1
	v_cmp_ne_u64_e32 vcc, v[42:43], v[44:45]
	v_mov_b32_e32 v14, 0
	s_mov_b32 s9, s8
	s_mov_b32 s10, s8
	;; [unrolled: 1-line block ×5, first 2 shown]
	v_pk_mov_b32 v[24:25], s[14:15], s[14:15] op_sel:[0,1]
	v_cndmask_b32_e64 v11, 0, 1, vcc
	v_cmp_gt_u32_e32 vcc, s64, v10
	s_waitcnt lgkmcnt(0)
	v_mov_b32_e32 v10, v46
	v_mov_b32_e32 v12, v14
	;; [unrolled: 1-line block ×6, first 2 shown]
	v_pk_mov_b32 v[22:23], s[12:13], s[12:13] op_sel:[0,1]
	v_pk_mov_b32 v[20:21], s[10:11], s[10:11] op_sel:[0,1]
	;; [unrolled: 1-line block ×3, first 2 shown]
                                        ; implicit-def: $sgpr34_sgpr35
                                        ; implicit-def: $vgpr59
	s_and_saveexec_b64 s[30:31], vcc
	s_cbranch_execz .LBB28_134
; %bb.121:
	v_add_u32_e32 v10, 7, v1
	v_cmp_ne_u64_e32 vcc, v[44:45], v[38:39]
	v_pk_mov_b32 v[24:25], s[14:15], s[14:15] op_sel:[0,1]
	v_cndmask_b32_e64 v13, 0, 1, vcc
	v_cmp_gt_u32_e32 vcc, s64, v10
	v_mov_b32_e32 v10, v46
	v_mov_b32_e32 v12, v47
	;; [unrolled: 1-line block ×5, first 2 shown]
	v_pk_mov_b32 v[22:23], s[12:13], s[12:13] op_sel:[0,1]
	v_pk_mov_b32 v[20:21], s[10:11], s[10:11] op_sel:[0,1]
	;; [unrolled: 1-line block ×3, first 2 shown]
                                        ; implicit-def: $sgpr8_sgpr9
                                        ; implicit-def: $vgpr59
	s_and_saveexec_b64 s[34:35], vcc
	s_cbranch_execz .LBB28_133
; %bb.122:
	ds_read2_b32 v[42:43], v58 offset0:7 offset1:8
	s_mov_b32 s8, 0
	s_mov_b32 s14, s8
	;; [unrolled: 1-line block ×3, first 2 shown]
	v_add_u32_e32 v14, 8, v1
	v_cmp_ne_u64_e32 vcc, v[38:39], v[40:41]
	s_mov_b32 s9, s8
	s_mov_b32 s10, s8
	s_mov_b32 s11, s8
	s_mov_b32 s12, s8
	s_mov_b32 s13, s8
	v_pk_mov_b32 v[24:25], s[14:15], s[14:15] op_sel:[0,1]
	v_cndmask_b32_e64 v15, 0, 1, vcc
	v_cmp_gt_u32_e32 vcc, s64, v14
	s_waitcnt lgkmcnt(0)
	v_mov_b32_e32 v14, v42
	v_mov_b32_e32 v16, s8
	;; [unrolled: 1-line block ×3, first 2 shown]
	v_pk_mov_b32 v[22:23], s[12:13], s[12:13] op_sel:[0,1]
	v_pk_mov_b32 v[20:21], s[10:11], s[10:11] op_sel:[0,1]
	v_pk_mov_b32 v[18:19], s[8:9], s[8:9] op_sel:[0,1]
                                        ; implicit-def: $sgpr60_sgpr61
                                        ; implicit-def: $vgpr59
	s_and_saveexec_b64 s[36:37], vcc
	s_cbranch_execz .LBB28_132
; %bb.123:
	v_add_u32_e32 v16, 9, v1
	v_cmp_ne_u64_e32 vcc, v[40:41], v[34:35]
	v_pk_mov_b32 v[24:25], s[14:15], s[14:15] op_sel:[0,1]
	v_cndmask_b32_e64 v17, 0, 1, vcc
	v_cmp_gt_u32_e32 vcc, s64, v16
	v_mov_b32_e32 v16, v43
	v_pk_mov_b32 v[22:23], s[12:13], s[12:13] op_sel:[0,1]
	v_pk_mov_b32 v[20:21], s[10:11], s[10:11] op_sel:[0,1]
	;; [unrolled: 1-line block ×3, first 2 shown]
                                        ; implicit-def: $sgpr10_sgpr11
                                        ; implicit-def: $vgpr59
	s_and_saveexec_b64 s[8:9], vcc
	s_cbranch_execz .LBB28_131
; %bb.124:
	ds_read2_b32 v[38:39], v58 offset0:9 offset1:10
	v_add_u32_e32 v18, 10, v1
	v_cmp_ne_u64_e32 vcc, v[34:35], v[36:37]
	v_mov_b32_e32 v22, 0
	v_cndmask_b32_e64 v19, 0, 1, vcc
	v_cmp_gt_u32_e32 vcc, s64, v18
	s_waitcnt lgkmcnt(0)
	v_mov_b32_e32 v18, v38
	v_mov_b32_e32 v20, v22
	v_mov_b32_e32 v21, v22
	v_mov_b32_e32 v23, v22
	v_mov_b32_e32 v24, v22
	v_mov_b32_e32 v25, v22
                                        ; implicit-def: $sgpr12_sgpr13
                                        ; implicit-def: $vgpr59
	s_and_saveexec_b64 s[10:11], vcc
	s_cbranch_execz .LBB28_130
; %bb.125:
	v_add_u32_e32 v18, 11, v1
	v_cmp_ne_u64_e32 vcc, v[36:37], v[26:27]
	v_cndmask_b32_e64 v21, 0, 1, vcc
	v_cmp_gt_u32_e32 vcc, s64, v18
	s_mov_b32 s60, 0
	v_mov_b32_e32 v18, v38
	v_mov_b32_e32 v20, v39
	;; [unrolled: 1-line block ×5, first 2 shown]
                                        ; implicit-def: $sgpr14_sgpr15
                                        ; implicit-def: $vgpr59
	s_and_saveexec_b64 s[12:13], vcc
	s_cbranch_execz .LBB28_129
; %bb.126:
	ds_read2_b32 v[34:35], v58 offset0:11 offset1:12
	v_add_u32_e32 v22, 12, v1
	v_cmp_ne_u64_e32 vcc, v[26:27], v[28:29]
	v_cndmask_b32_e64 v23, 0, 1, vcc
	v_cmp_gt_u32_e32 vcc, s64, v22
	s_waitcnt lgkmcnt(0)
	v_mov_b32_e32 v22, v34
	v_mov_b32_e32 v24, s60
	;; [unrolled: 1-line block ×3, first 2 shown]
                                        ; implicit-def: $sgpr14_sgpr15
                                        ; implicit-def: $vgpr59
	s_and_saveexec_b64 s[60:61], vcc
	s_xor_b64 s[60:61], exec, s[60:61]
	s_cbranch_execz .LBB28_128
; %bb.127:
	ds_read_b32 v59, v58 offset:52
	v_add_u32_e32 v1, 13, v1
	v_cmp_ne_u64_e64 s[2:3], v[28:29], v[30:31]
	v_cmp_ne_u64_e32 vcc, v[30:31], v[32:33]
	v_cndmask_b32_e64 v25, 0, 1, s[2:3]
	v_cmp_gt_u32_e64 s[2:3], s64, v1
	v_mov_b32_e32 v24, v35
	s_and_b64 s[14:15], vcc, exec
	s_and_b64 s[2:3], s[2:3], exec
.LBB28_128:
	s_or_b64 exec, exec, s[60:61]
	s_and_b64 s[14:15], s[14:15], exec
	s_and_b64 s[2:3], s[2:3], exec
.LBB28_129:
	s_or_b64 exec, exec, s[12:13]
	s_and_b64 s[12:13], s[14:15], exec
	s_and_b64 s[2:3], s[2:3], exec
.LBB28_130:
	s_or_b64 exec, exec, s[10:11]
	s_and_b64 s[10:11], s[12:13], exec
	s_and_b64 s[2:3], s[2:3], exec
.LBB28_131:
	s_or_b64 exec, exec, s[8:9]
	s_and_b64 s[60:61], s[10:11], exec
	s_and_b64 s[2:3], s[2:3], exec
.LBB28_132:
	s_or_b64 exec, exec, s[36:37]
	s_and_b64 s[8:9], s[60:61], exec
	s_and_b64 s[2:3], s[2:3], exec
.LBB28_133:
	s_or_b64 exec, exec, s[34:35]
	s_and_b64 s[34:35], s[8:9], exec
	s_and_b64 s[2:3], s[2:3], exec
.LBB28_134:
	s_or_b64 exec, exec, s[30:31]
	s_and_b64 s[8:9], s[34:35], exec
	s_and_b64 s[2:3], s[2:3], exec
.LBB28_135:
	s_or_b64 exec, exec, s[28:29]
	s_and_b64 s[28:29], s[8:9], exec
	s_and_b64 s[2:3], s[2:3], exec
.LBB28_136:
	s_or_b64 exec, exec, s[26:27]
	s_and_b64 s[8:9], s[28:29], exec
	s_and_b64 s[2:3], s[2:3], exec
.LBB28_137:
	s_or_b64 exec, exec, s[24:25]
	s_and_b64 s[24:25], s[8:9], exec
	s_and_b64 s[2:3], s[2:3], exec
.LBB28_138:
	s_or_b64 exec, exec, s[22:23]
	s_and_b64 s[8:9], s[24:25], exec
	s_and_b64 s[22:23], s[2:3], exec
.LBB28_139:
	s_or_b64 exec, exec, s[20:21]
	s_and_b64 s[2:3], s[8:9], exec
	s_and_b64 s[20:21], s[22:23], exec
.LBB28_140:
	s_or_b64 exec, exec, s[18:19]
	s_and_b64 vcc, exec, s[16:17]
	s_cbranch_vccz .LBB28_225
.LBB28_141:
	v_mov_b32_e32 v1, s45
	v_add_co_u32_e32 v28, vcc, s44, v0
	v_addc_co_u32_e32 v1, vcc, 0, v1, vcc
	v_mov_b32_e32 v2, 0
	v_or_b32_e32 v3, s47, v1
	v_cmp_ne_u64_e32 vcc, 0, v[2:3]
                                        ; implicit-def: $vgpr2_vgpr3
	s_and_saveexec_b64 s[2:3], vcc
	s_xor_b64 s[8:9], exec, s[2:3]
	s_cbranch_execz .LBB28_143
; %bb.142:
	v_cvt_f32_u32_e32 v2, s46
	v_cvt_f32_u32_e32 v3, s47
	s_sub_u32 s2, 0, s46
	s_subb_u32 s3, 0, s47
	v_madmk_f32 v2, v3, 0x4f800000, v2
	v_rcp_f32_e32 v2, v2
	v_mul_f32_e32 v2, 0x5f7ffffc, v2
	v_mul_f32_e32 v3, 0x2f800000, v2
	v_trunc_f32_e32 v3, v3
	v_madmk_f32 v2, v3, 0xcf800000, v2
	v_cvt_u32_f32_e32 v3, v3
	v_cvt_u32_f32_e32 v2, v2
	v_mul_lo_u32 v4, s2, v3
	v_mul_hi_u32 v6, s2, v2
	v_mul_lo_u32 v5, s3, v2
	v_add_u32_e32 v4, v6, v4
	v_mul_lo_u32 v7, s2, v2
	v_add_u32_e32 v4, v4, v5
	v_mul_hi_u32 v6, v2, v7
	v_mul_lo_u32 v8, v2, v4
	v_mul_hi_u32 v5, v2, v4
	v_add_co_u32_e32 v6, vcc, v6, v8
	v_addc_co_u32_e32 v5, vcc, 0, v5, vcc
	v_mul_hi_u32 v9, v3, v7
	v_mul_lo_u32 v7, v3, v7
	v_add_co_u32_e32 v6, vcc, v6, v7
	v_mul_hi_u32 v8, v3, v4
	v_addc_co_u32_e32 v5, vcc, v5, v9, vcc
	v_addc_co_u32_e32 v6, vcc, 0, v8, vcc
	v_mul_lo_u32 v4, v3, v4
	v_add_co_u32_e32 v4, vcc, v5, v4
	v_addc_co_u32_e32 v5, vcc, 0, v6, vcc
	v_add_co_u32_e32 v2, vcc, v2, v4
	v_addc_co_u32_e32 v3, vcc, v3, v5, vcc
	v_mul_lo_u32 v4, s2, v3
	v_mul_hi_u32 v5, s2, v2
	v_add_u32_e32 v4, v5, v4
	v_mul_lo_u32 v5, s3, v2
	v_add_u32_e32 v4, v4, v5
	v_mul_lo_u32 v6, s2, v2
	v_mul_hi_u32 v7, v3, v6
	v_mul_lo_u32 v8, v3, v6
	v_mul_lo_u32 v10, v2, v4
	v_mul_hi_u32 v6, v2, v6
	v_mul_hi_u32 v9, v2, v4
	v_add_co_u32_e32 v6, vcc, v6, v10
	v_addc_co_u32_e32 v9, vcc, 0, v9, vcc
	v_add_co_u32_e32 v6, vcc, v6, v8
	v_mul_hi_u32 v5, v3, v4
	v_addc_co_u32_e32 v6, vcc, v9, v7, vcc
	v_addc_co_u32_e32 v5, vcc, 0, v5, vcc
	v_mul_lo_u32 v4, v3, v4
	v_add_co_u32_e32 v4, vcc, v6, v4
	v_addc_co_u32_e32 v5, vcc, 0, v5, vcc
	v_add_co_u32_e32 v4, vcc, v2, v4
	v_addc_co_u32_e32 v5, vcc, v3, v5, vcc
	v_mad_u64_u32 v[2:3], s[2:3], v28, v5, 0
	v_mul_hi_u32 v6, v28, v4
	v_add_co_u32_e32 v6, vcc, v6, v2
	v_addc_co_u32_e32 v7, vcc, 0, v3, vcc
	v_mad_u64_u32 v[2:3], s[2:3], v1, v5, 0
	v_mad_u64_u32 v[4:5], s[2:3], v1, v4, 0
	v_add_co_u32_e32 v4, vcc, v6, v4
	v_addc_co_u32_e32 v4, vcc, v7, v5, vcc
	v_addc_co_u32_e32 v3, vcc, 0, v3, vcc
	v_add_co_u32_e32 v4, vcc, v4, v2
	v_addc_co_u32_e32 v5, vcc, 0, v3, vcc
	v_mul_lo_u32 v6, s47, v4
	v_mul_lo_u32 v7, s46, v5
	v_mad_u64_u32 v[2:3], s[2:3], s46, v4, 0
	v_add3_u32 v3, v3, v7, v6
	v_sub_u32_e32 v6, v1, v3
	v_mov_b32_e32 v7, s47
	v_sub_co_u32_e32 v2, vcc, v28, v2
	v_subb_co_u32_e64 v6, s[2:3], v6, v7, vcc
	v_subrev_co_u32_e64 v7, s[2:3], s46, v2
	v_subbrev_co_u32_e64 v6, s[2:3], 0, v6, s[2:3]
	v_cmp_le_u32_e64 s[2:3], s47, v6
	v_cndmask_b32_e64 v8, 0, -1, s[2:3]
	v_cmp_le_u32_e64 s[2:3], s46, v7
	v_cndmask_b32_e64 v7, 0, -1, s[2:3]
	v_cmp_eq_u32_e64 s[2:3], s47, v6
	v_cndmask_b32_e64 v6, v8, v7, s[2:3]
	v_add_co_u32_e64 v7, s[2:3], 2, v4
	v_addc_co_u32_e64 v8, s[2:3], 0, v5, s[2:3]
	v_add_co_u32_e64 v9, s[2:3], 1, v4
	v_addc_co_u32_e64 v10, s[2:3], 0, v5, s[2:3]
	v_subb_co_u32_e32 v3, vcc, v1, v3, vcc
	v_cmp_ne_u32_e64 s[2:3], 0, v6
	v_cmp_le_u32_e32 vcc, s47, v3
	v_cndmask_b32_e64 v6, v10, v8, s[2:3]
	v_cndmask_b32_e64 v8, 0, -1, vcc
	v_cmp_le_u32_e32 vcc, s46, v2
	v_cndmask_b32_e64 v2, 0, -1, vcc
	v_cmp_eq_u32_e32 vcc, s47, v3
	v_cndmask_b32_e32 v2, v8, v2, vcc
	v_cmp_ne_u32_e32 vcc, 0, v2
	v_cndmask_b32_e64 v2, v9, v7, s[2:3]
	v_cndmask_b32_e32 v3, v5, v6, vcc
	v_cndmask_b32_e32 v2, v4, v2, vcc
.LBB28_143:
	s_andn2_saveexec_b64 s[2:3], s[8:9]
	s_cbranch_execz .LBB28_145
; %bb.144:
	v_cvt_f32_u32_e32 v2, s46
	s_sub_i32 s8, 0, s46
	v_rcp_iflag_f32_e32 v2, v2
	v_mul_f32_e32 v2, 0x4f7ffffe, v2
	v_cvt_u32_f32_e32 v2, v2
	v_mul_lo_u32 v3, s8, v2
	v_mul_hi_u32 v3, v2, v3
	v_add_u32_e32 v2, v2, v3
	v_mul_hi_u32 v2, v28, v2
	v_mul_lo_u32 v3, v2, s46
	v_sub_u32_e32 v3, v28, v3
	v_add_u32_e32 v4, 1, v2
	v_subrev_u32_e32 v5, s46, v3
	v_cmp_le_u32_e32 vcc, s46, v3
	v_cndmask_b32_e32 v3, v3, v5, vcc
	v_cndmask_b32_e32 v2, v2, v4, vcc
	v_add_u32_e32 v4, 1, v2
	v_cmp_le_u32_e32 vcc, s46, v3
	v_cndmask_b32_e32 v2, v2, v4, vcc
	v_mov_b32_e32 v3, 0
.LBB28_145:
	s_or_b64 exec, exec, s[2:3]
	v_add_co_u32_e32 v6, vcc, 0x100, v28
	v_addc_co_u32_e32 v7, vcc, 0, v1, vcc
	v_or_b32_e32 v5, s47, v7
	v_mov_b32_e32 v4, 0
	v_cmp_ne_u64_e32 vcc, 0, v[4:5]
                                        ; implicit-def: $vgpr4_vgpr5
	s_and_saveexec_b64 s[2:3], vcc
	s_xor_b64 s[8:9], exec, s[2:3]
	s_cbranch_execz .LBB28_147
; %bb.146:
	v_cvt_f32_u32_e32 v4, s46
	v_cvt_f32_u32_e32 v5, s47
	s_sub_u32 s2, 0, s46
	s_subb_u32 s3, 0, s47
	v_madmk_f32 v4, v5, 0x4f800000, v4
	v_rcp_f32_e32 v4, v4
	v_mul_f32_e32 v4, 0x5f7ffffc, v4
	v_mul_f32_e32 v5, 0x2f800000, v4
	v_trunc_f32_e32 v5, v5
	v_madmk_f32 v4, v5, 0xcf800000, v4
	v_cvt_u32_f32_e32 v5, v5
	v_cvt_u32_f32_e32 v4, v4
	v_mul_lo_u32 v8, s2, v5
	v_mul_hi_u32 v10, s2, v4
	v_mul_lo_u32 v9, s3, v4
	v_add_u32_e32 v8, v10, v8
	v_mul_lo_u32 v11, s2, v4
	v_add_u32_e32 v8, v8, v9
	v_mul_hi_u32 v10, v4, v11
	v_mul_lo_u32 v12, v4, v8
	v_mul_hi_u32 v9, v4, v8
	v_add_co_u32_e32 v10, vcc, v10, v12
	v_addc_co_u32_e32 v9, vcc, 0, v9, vcc
	v_mul_hi_u32 v13, v5, v11
	v_mul_lo_u32 v11, v5, v11
	v_add_co_u32_e32 v10, vcc, v10, v11
	v_mul_hi_u32 v12, v5, v8
	v_addc_co_u32_e32 v9, vcc, v9, v13, vcc
	v_addc_co_u32_e32 v10, vcc, 0, v12, vcc
	v_mul_lo_u32 v8, v5, v8
	v_add_co_u32_e32 v8, vcc, v9, v8
	v_addc_co_u32_e32 v9, vcc, 0, v10, vcc
	v_add_co_u32_e32 v4, vcc, v4, v8
	v_addc_co_u32_e32 v5, vcc, v5, v9, vcc
	v_mul_lo_u32 v8, s2, v5
	v_mul_hi_u32 v9, s2, v4
	v_add_u32_e32 v8, v9, v8
	v_mul_lo_u32 v9, s3, v4
	v_add_u32_e32 v8, v8, v9
	v_mul_lo_u32 v10, s2, v4
	v_mul_hi_u32 v11, v5, v10
	v_mul_lo_u32 v12, v5, v10
	v_mul_lo_u32 v14, v4, v8
	v_mul_hi_u32 v10, v4, v10
	v_mul_hi_u32 v13, v4, v8
	v_add_co_u32_e32 v10, vcc, v10, v14
	v_addc_co_u32_e32 v13, vcc, 0, v13, vcc
	v_add_co_u32_e32 v10, vcc, v10, v12
	v_mul_hi_u32 v9, v5, v8
	v_addc_co_u32_e32 v10, vcc, v13, v11, vcc
	v_addc_co_u32_e32 v9, vcc, 0, v9, vcc
	v_mul_lo_u32 v8, v5, v8
	v_add_co_u32_e32 v8, vcc, v10, v8
	v_addc_co_u32_e32 v9, vcc, 0, v9, vcc
	v_add_co_u32_e32 v8, vcc, v4, v8
	v_addc_co_u32_e32 v9, vcc, v5, v9, vcc
	v_mad_u64_u32 v[4:5], s[2:3], v6, v9, 0
	v_mul_hi_u32 v10, v6, v8
	v_add_co_u32_e32 v10, vcc, v10, v4
	v_addc_co_u32_e32 v11, vcc, 0, v5, vcc
	v_mad_u64_u32 v[4:5], s[2:3], v7, v9, 0
	v_mad_u64_u32 v[8:9], s[2:3], v7, v8, 0
	v_add_co_u32_e32 v8, vcc, v10, v8
	v_addc_co_u32_e32 v8, vcc, v11, v9, vcc
	v_addc_co_u32_e32 v5, vcc, 0, v5, vcc
	v_add_co_u32_e32 v8, vcc, v8, v4
	v_addc_co_u32_e32 v9, vcc, 0, v5, vcc
	v_mul_lo_u32 v10, s47, v8
	v_mul_lo_u32 v11, s46, v9
	v_mad_u64_u32 v[4:5], s[2:3], s46, v8, 0
	v_add3_u32 v5, v5, v11, v10
	v_sub_u32_e32 v10, v7, v5
	v_mov_b32_e32 v11, s47
	v_sub_co_u32_e32 v4, vcc, v6, v4
	v_subb_co_u32_e64 v6, s[2:3], v10, v11, vcc
	v_subrev_co_u32_e64 v10, s[2:3], s46, v4
	v_subbrev_co_u32_e64 v6, s[2:3], 0, v6, s[2:3]
	v_cmp_le_u32_e64 s[2:3], s47, v6
	v_cndmask_b32_e64 v11, 0, -1, s[2:3]
	v_cmp_le_u32_e64 s[2:3], s46, v10
	v_cndmask_b32_e64 v10, 0, -1, s[2:3]
	v_cmp_eq_u32_e64 s[2:3], s47, v6
	v_cndmask_b32_e64 v6, v11, v10, s[2:3]
	v_add_co_u32_e64 v10, s[2:3], 2, v8
	v_subb_co_u32_e32 v5, vcc, v7, v5, vcc
	v_addc_co_u32_e64 v11, s[2:3], 0, v9, s[2:3]
	v_cmp_le_u32_e32 vcc, s47, v5
	v_add_co_u32_e64 v12, s[2:3], 1, v8
	v_cndmask_b32_e64 v7, 0, -1, vcc
	v_cmp_le_u32_e32 vcc, s46, v4
	v_addc_co_u32_e64 v13, s[2:3], 0, v9, s[2:3]
	v_cndmask_b32_e64 v4, 0, -1, vcc
	v_cmp_eq_u32_e32 vcc, s47, v5
	v_cmp_ne_u32_e64 s[2:3], 0, v6
	v_cndmask_b32_e32 v4, v7, v4, vcc
	v_cndmask_b32_e64 v6, v13, v11, s[2:3]
	v_cmp_ne_u32_e32 vcc, 0, v4
	v_cndmask_b32_e64 v4, v12, v10, s[2:3]
	v_cndmask_b32_e32 v5, v9, v6, vcc
	v_cndmask_b32_e32 v4, v8, v4, vcc
                                        ; implicit-def: $vgpr6
.LBB28_147:
	s_andn2_saveexec_b64 s[2:3], s[8:9]
	s_cbranch_execz .LBB28_149
; %bb.148:
	v_cvt_f32_u32_e32 v4, s46
	s_sub_i32 s8, 0, s46
	v_rcp_iflag_f32_e32 v4, v4
	v_mul_f32_e32 v4, 0x4f7ffffe, v4
	v_cvt_u32_f32_e32 v4, v4
	v_mul_lo_u32 v5, s8, v4
	v_mul_hi_u32 v5, v4, v5
	v_add_u32_e32 v4, v4, v5
	v_mul_hi_u32 v4, v6, v4
	v_mul_lo_u32 v5, v4, s46
	v_sub_u32_e32 v5, v6, v5
	v_add_u32_e32 v7, 1, v4
	v_subrev_u32_e32 v6, s46, v5
	v_cmp_le_u32_e32 vcc, s46, v5
	v_cndmask_b32_e32 v5, v5, v6, vcc
	v_cndmask_b32_e32 v4, v4, v7, vcc
	v_add_u32_e32 v6, 1, v4
	v_cmp_le_u32_e32 vcc, s46, v5
	v_cndmask_b32_e32 v4, v4, v6, vcc
	v_mov_b32_e32 v5, 0
.LBB28_149:
	s_or_b64 exec, exec, s[2:3]
	v_add_co_u32_e32 v8, vcc, 0x200, v28
	v_addc_co_u32_e32 v9, vcc, 0, v1, vcc
	v_or_b32_e32 v7, s47, v9
	v_mov_b32_e32 v6, 0
	v_cmp_ne_u64_e32 vcc, 0, v[6:7]
                                        ; implicit-def: $vgpr6_vgpr7
	s_and_saveexec_b64 s[2:3], vcc
	s_xor_b64 s[8:9], exec, s[2:3]
	s_cbranch_execz .LBB28_151
; %bb.150:
	v_cvt_f32_u32_e32 v6, s46
	v_cvt_f32_u32_e32 v7, s47
	s_sub_u32 s2, 0, s46
	s_subb_u32 s3, 0, s47
	v_madmk_f32 v6, v7, 0x4f800000, v6
	v_rcp_f32_e32 v6, v6
	v_mul_f32_e32 v6, 0x5f7ffffc, v6
	v_mul_f32_e32 v7, 0x2f800000, v6
	v_trunc_f32_e32 v7, v7
	v_madmk_f32 v6, v7, 0xcf800000, v6
	v_cvt_u32_f32_e32 v7, v7
	v_cvt_u32_f32_e32 v6, v6
	v_mul_lo_u32 v10, s2, v7
	v_mul_hi_u32 v12, s2, v6
	v_mul_lo_u32 v11, s3, v6
	v_add_u32_e32 v10, v12, v10
	v_mul_lo_u32 v13, s2, v6
	v_add_u32_e32 v10, v10, v11
	v_mul_hi_u32 v12, v6, v13
	v_mul_lo_u32 v14, v6, v10
	v_mul_hi_u32 v11, v6, v10
	v_add_co_u32_e32 v12, vcc, v12, v14
	v_addc_co_u32_e32 v11, vcc, 0, v11, vcc
	v_mul_hi_u32 v15, v7, v13
	v_mul_lo_u32 v13, v7, v13
	v_add_co_u32_e32 v12, vcc, v12, v13
	v_mul_hi_u32 v14, v7, v10
	v_addc_co_u32_e32 v11, vcc, v11, v15, vcc
	v_addc_co_u32_e32 v12, vcc, 0, v14, vcc
	v_mul_lo_u32 v10, v7, v10
	v_add_co_u32_e32 v10, vcc, v11, v10
	v_addc_co_u32_e32 v11, vcc, 0, v12, vcc
	v_add_co_u32_e32 v6, vcc, v6, v10
	v_addc_co_u32_e32 v7, vcc, v7, v11, vcc
	v_mul_lo_u32 v10, s2, v7
	v_mul_hi_u32 v11, s2, v6
	v_add_u32_e32 v10, v11, v10
	v_mul_lo_u32 v11, s3, v6
	v_add_u32_e32 v10, v10, v11
	v_mul_lo_u32 v12, s2, v6
	v_mul_hi_u32 v13, v7, v12
	v_mul_lo_u32 v14, v7, v12
	v_mul_lo_u32 v16, v6, v10
	v_mul_hi_u32 v12, v6, v12
	v_mul_hi_u32 v15, v6, v10
	v_add_co_u32_e32 v12, vcc, v12, v16
	v_addc_co_u32_e32 v15, vcc, 0, v15, vcc
	v_add_co_u32_e32 v12, vcc, v12, v14
	v_mul_hi_u32 v11, v7, v10
	v_addc_co_u32_e32 v12, vcc, v15, v13, vcc
	v_addc_co_u32_e32 v11, vcc, 0, v11, vcc
	v_mul_lo_u32 v10, v7, v10
	v_add_co_u32_e32 v10, vcc, v12, v10
	v_addc_co_u32_e32 v11, vcc, 0, v11, vcc
	v_add_co_u32_e32 v10, vcc, v6, v10
	v_addc_co_u32_e32 v11, vcc, v7, v11, vcc
	v_mad_u64_u32 v[6:7], s[2:3], v8, v11, 0
	v_mul_hi_u32 v12, v8, v10
	v_add_co_u32_e32 v12, vcc, v12, v6
	v_addc_co_u32_e32 v13, vcc, 0, v7, vcc
	v_mad_u64_u32 v[6:7], s[2:3], v9, v11, 0
	v_mad_u64_u32 v[10:11], s[2:3], v9, v10, 0
	v_add_co_u32_e32 v10, vcc, v12, v10
	v_addc_co_u32_e32 v10, vcc, v13, v11, vcc
	v_addc_co_u32_e32 v7, vcc, 0, v7, vcc
	v_add_co_u32_e32 v10, vcc, v10, v6
	v_addc_co_u32_e32 v11, vcc, 0, v7, vcc
	v_mul_lo_u32 v12, s47, v10
	v_mul_lo_u32 v13, s46, v11
	v_mad_u64_u32 v[6:7], s[2:3], s46, v10, 0
	v_add3_u32 v7, v7, v13, v12
	v_sub_u32_e32 v12, v9, v7
	v_mov_b32_e32 v13, s47
	v_sub_co_u32_e32 v6, vcc, v8, v6
	v_subb_co_u32_e64 v8, s[2:3], v12, v13, vcc
	v_subrev_co_u32_e64 v12, s[2:3], s46, v6
	v_subbrev_co_u32_e64 v8, s[2:3], 0, v8, s[2:3]
	v_cmp_le_u32_e64 s[2:3], s47, v8
	v_cndmask_b32_e64 v13, 0, -1, s[2:3]
	v_cmp_le_u32_e64 s[2:3], s46, v12
	v_cndmask_b32_e64 v12, 0, -1, s[2:3]
	v_cmp_eq_u32_e64 s[2:3], s47, v8
	v_cndmask_b32_e64 v8, v13, v12, s[2:3]
	v_add_co_u32_e64 v12, s[2:3], 2, v10
	v_subb_co_u32_e32 v7, vcc, v9, v7, vcc
	v_addc_co_u32_e64 v13, s[2:3], 0, v11, s[2:3]
	v_cmp_le_u32_e32 vcc, s47, v7
	v_add_co_u32_e64 v14, s[2:3], 1, v10
	v_cndmask_b32_e64 v9, 0, -1, vcc
	v_cmp_le_u32_e32 vcc, s46, v6
	v_addc_co_u32_e64 v15, s[2:3], 0, v11, s[2:3]
	v_cndmask_b32_e64 v6, 0, -1, vcc
	v_cmp_eq_u32_e32 vcc, s47, v7
	v_cmp_ne_u32_e64 s[2:3], 0, v8
	v_cndmask_b32_e32 v6, v9, v6, vcc
	v_cndmask_b32_e64 v8, v15, v13, s[2:3]
	v_cmp_ne_u32_e32 vcc, 0, v6
	v_cndmask_b32_e64 v6, v14, v12, s[2:3]
	v_cndmask_b32_e32 v7, v11, v8, vcc
	v_cndmask_b32_e32 v6, v10, v6, vcc
                                        ; implicit-def: $vgpr8
.LBB28_151:
	s_andn2_saveexec_b64 s[2:3], s[8:9]
	s_cbranch_execz .LBB28_153
; %bb.152:
	v_cvt_f32_u32_e32 v6, s46
	s_sub_i32 s8, 0, s46
	v_rcp_iflag_f32_e32 v6, v6
	v_mul_f32_e32 v6, 0x4f7ffffe, v6
	v_cvt_u32_f32_e32 v6, v6
	v_mul_lo_u32 v7, s8, v6
	v_mul_hi_u32 v7, v6, v7
	v_add_u32_e32 v6, v6, v7
	v_mul_hi_u32 v6, v8, v6
	v_mul_lo_u32 v7, v6, s46
	v_sub_u32_e32 v7, v8, v7
	v_add_u32_e32 v9, 1, v6
	v_subrev_u32_e32 v8, s46, v7
	v_cmp_le_u32_e32 vcc, s46, v7
	v_cndmask_b32_e32 v7, v7, v8, vcc
	v_cndmask_b32_e32 v6, v6, v9, vcc
	v_add_u32_e32 v8, 1, v6
	v_cmp_le_u32_e32 vcc, s46, v7
	v_cndmask_b32_e32 v6, v6, v8, vcc
	v_mov_b32_e32 v7, 0
.LBB28_153:
	s_or_b64 exec, exec, s[2:3]
	v_add_co_u32_e32 v10, vcc, 0x300, v28
	v_addc_co_u32_e32 v11, vcc, 0, v1, vcc
	v_or_b32_e32 v9, s47, v11
	v_mov_b32_e32 v8, 0
	v_cmp_ne_u64_e32 vcc, 0, v[8:9]
                                        ; implicit-def: $vgpr8_vgpr9
	s_and_saveexec_b64 s[2:3], vcc
	s_xor_b64 s[8:9], exec, s[2:3]
	s_cbranch_execz .LBB28_155
; %bb.154:
	v_cvt_f32_u32_e32 v8, s46
	v_cvt_f32_u32_e32 v9, s47
	s_sub_u32 s2, 0, s46
	s_subb_u32 s3, 0, s47
	v_madmk_f32 v8, v9, 0x4f800000, v8
	v_rcp_f32_e32 v8, v8
	v_mul_f32_e32 v8, 0x5f7ffffc, v8
	v_mul_f32_e32 v9, 0x2f800000, v8
	v_trunc_f32_e32 v9, v9
	v_madmk_f32 v8, v9, 0xcf800000, v8
	v_cvt_u32_f32_e32 v9, v9
	v_cvt_u32_f32_e32 v8, v8
	v_mul_lo_u32 v12, s2, v9
	v_mul_hi_u32 v14, s2, v8
	v_mul_lo_u32 v13, s3, v8
	v_add_u32_e32 v12, v14, v12
	v_mul_lo_u32 v15, s2, v8
	v_add_u32_e32 v12, v12, v13
	v_mul_hi_u32 v14, v8, v15
	v_mul_lo_u32 v16, v8, v12
	v_mul_hi_u32 v13, v8, v12
	v_add_co_u32_e32 v14, vcc, v14, v16
	v_addc_co_u32_e32 v13, vcc, 0, v13, vcc
	v_mul_hi_u32 v17, v9, v15
	v_mul_lo_u32 v15, v9, v15
	v_add_co_u32_e32 v14, vcc, v14, v15
	v_mul_hi_u32 v16, v9, v12
	v_addc_co_u32_e32 v13, vcc, v13, v17, vcc
	v_addc_co_u32_e32 v14, vcc, 0, v16, vcc
	v_mul_lo_u32 v12, v9, v12
	v_add_co_u32_e32 v12, vcc, v13, v12
	v_addc_co_u32_e32 v13, vcc, 0, v14, vcc
	v_add_co_u32_e32 v8, vcc, v8, v12
	v_addc_co_u32_e32 v9, vcc, v9, v13, vcc
	v_mul_lo_u32 v12, s2, v9
	v_mul_hi_u32 v13, s2, v8
	v_add_u32_e32 v12, v13, v12
	v_mul_lo_u32 v13, s3, v8
	v_add_u32_e32 v12, v12, v13
	v_mul_lo_u32 v14, s2, v8
	v_mul_hi_u32 v15, v9, v14
	v_mul_lo_u32 v16, v9, v14
	v_mul_lo_u32 v18, v8, v12
	v_mul_hi_u32 v14, v8, v14
	v_mul_hi_u32 v17, v8, v12
	v_add_co_u32_e32 v14, vcc, v14, v18
	v_addc_co_u32_e32 v17, vcc, 0, v17, vcc
	v_add_co_u32_e32 v14, vcc, v14, v16
	v_mul_hi_u32 v13, v9, v12
	v_addc_co_u32_e32 v14, vcc, v17, v15, vcc
	v_addc_co_u32_e32 v13, vcc, 0, v13, vcc
	v_mul_lo_u32 v12, v9, v12
	v_add_co_u32_e32 v12, vcc, v14, v12
	v_addc_co_u32_e32 v13, vcc, 0, v13, vcc
	v_add_co_u32_e32 v12, vcc, v8, v12
	v_addc_co_u32_e32 v13, vcc, v9, v13, vcc
	v_mad_u64_u32 v[8:9], s[2:3], v10, v13, 0
	v_mul_hi_u32 v14, v10, v12
	v_add_co_u32_e32 v14, vcc, v14, v8
	v_addc_co_u32_e32 v15, vcc, 0, v9, vcc
	v_mad_u64_u32 v[8:9], s[2:3], v11, v13, 0
	v_mad_u64_u32 v[12:13], s[2:3], v11, v12, 0
	v_add_co_u32_e32 v12, vcc, v14, v12
	v_addc_co_u32_e32 v12, vcc, v15, v13, vcc
	v_addc_co_u32_e32 v9, vcc, 0, v9, vcc
	v_add_co_u32_e32 v12, vcc, v12, v8
	v_addc_co_u32_e32 v13, vcc, 0, v9, vcc
	v_mul_lo_u32 v14, s47, v12
	v_mul_lo_u32 v15, s46, v13
	v_mad_u64_u32 v[8:9], s[2:3], s46, v12, 0
	v_add3_u32 v9, v9, v15, v14
	v_sub_u32_e32 v14, v11, v9
	v_mov_b32_e32 v15, s47
	v_sub_co_u32_e32 v8, vcc, v10, v8
	v_subb_co_u32_e64 v10, s[2:3], v14, v15, vcc
	v_subrev_co_u32_e64 v14, s[2:3], s46, v8
	v_subbrev_co_u32_e64 v10, s[2:3], 0, v10, s[2:3]
	v_cmp_le_u32_e64 s[2:3], s47, v10
	v_cndmask_b32_e64 v15, 0, -1, s[2:3]
	v_cmp_le_u32_e64 s[2:3], s46, v14
	v_cndmask_b32_e64 v14, 0, -1, s[2:3]
	v_cmp_eq_u32_e64 s[2:3], s47, v10
	v_cndmask_b32_e64 v10, v15, v14, s[2:3]
	v_add_co_u32_e64 v14, s[2:3], 2, v12
	v_subb_co_u32_e32 v9, vcc, v11, v9, vcc
	v_addc_co_u32_e64 v15, s[2:3], 0, v13, s[2:3]
	v_cmp_le_u32_e32 vcc, s47, v9
	v_add_co_u32_e64 v16, s[2:3], 1, v12
	v_cndmask_b32_e64 v11, 0, -1, vcc
	v_cmp_le_u32_e32 vcc, s46, v8
	v_addc_co_u32_e64 v17, s[2:3], 0, v13, s[2:3]
	v_cndmask_b32_e64 v8, 0, -1, vcc
	v_cmp_eq_u32_e32 vcc, s47, v9
	v_cmp_ne_u32_e64 s[2:3], 0, v10
	v_cndmask_b32_e32 v8, v11, v8, vcc
	v_cndmask_b32_e64 v10, v17, v15, s[2:3]
	v_cmp_ne_u32_e32 vcc, 0, v8
	v_cndmask_b32_e64 v8, v16, v14, s[2:3]
	v_cndmask_b32_e32 v9, v13, v10, vcc
	v_cndmask_b32_e32 v8, v12, v8, vcc
                                        ; implicit-def: $vgpr10
.LBB28_155:
	s_andn2_saveexec_b64 s[2:3], s[8:9]
	s_cbranch_execz .LBB28_157
; %bb.156:
	v_cvt_f32_u32_e32 v8, s46
	s_sub_i32 s8, 0, s46
	v_rcp_iflag_f32_e32 v8, v8
	v_mul_f32_e32 v8, 0x4f7ffffe, v8
	v_cvt_u32_f32_e32 v8, v8
	v_mul_lo_u32 v9, s8, v8
	v_mul_hi_u32 v9, v8, v9
	v_add_u32_e32 v8, v8, v9
	v_mul_hi_u32 v8, v10, v8
	v_mul_lo_u32 v9, v8, s46
	v_sub_u32_e32 v9, v10, v9
	v_add_u32_e32 v11, 1, v8
	v_subrev_u32_e32 v10, s46, v9
	v_cmp_le_u32_e32 vcc, s46, v9
	v_cndmask_b32_e32 v9, v9, v10, vcc
	v_cndmask_b32_e32 v8, v8, v11, vcc
	v_add_u32_e32 v10, 1, v8
	v_cmp_le_u32_e32 vcc, s46, v9
	v_cndmask_b32_e32 v8, v8, v10, vcc
	v_mov_b32_e32 v9, 0
.LBB28_157:
	s_or_b64 exec, exec, s[2:3]
	v_add_co_u32_e32 v12, vcc, 0x400, v28
	v_addc_co_u32_e32 v13, vcc, 0, v1, vcc
	v_or_b32_e32 v11, s47, v13
	v_mov_b32_e32 v10, 0
	v_cmp_ne_u64_e32 vcc, 0, v[10:11]
                                        ; implicit-def: $vgpr10_vgpr11
	s_and_saveexec_b64 s[2:3], vcc
	s_xor_b64 s[8:9], exec, s[2:3]
	s_cbranch_execz .LBB28_159
; %bb.158:
	v_cvt_f32_u32_e32 v10, s46
	v_cvt_f32_u32_e32 v11, s47
	s_sub_u32 s2, 0, s46
	s_subb_u32 s3, 0, s47
	v_madmk_f32 v10, v11, 0x4f800000, v10
	v_rcp_f32_e32 v10, v10
	v_mul_f32_e32 v10, 0x5f7ffffc, v10
	v_mul_f32_e32 v11, 0x2f800000, v10
	v_trunc_f32_e32 v11, v11
	v_madmk_f32 v10, v11, 0xcf800000, v10
	v_cvt_u32_f32_e32 v11, v11
	v_cvt_u32_f32_e32 v10, v10
	v_mul_lo_u32 v14, s2, v11
	v_mul_hi_u32 v16, s2, v10
	v_mul_lo_u32 v15, s3, v10
	v_add_u32_e32 v14, v16, v14
	v_mul_lo_u32 v17, s2, v10
	v_add_u32_e32 v14, v14, v15
	v_mul_hi_u32 v16, v10, v17
	v_mul_lo_u32 v18, v10, v14
	v_mul_hi_u32 v15, v10, v14
	v_add_co_u32_e32 v16, vcc, v16, v18
	v_addc_co_u32_e32 v15, vcc, 0, v15, vcc
	v_mul_hi_u32 v19, v11, v17
	v_mul_lo_u32 v17, v11, v17
	v_add_co_u32_e32 v16, vcc, v16, v17
	v_mul_hi_u32 v18, v11, v14
	v_addc_co_u32_e32 v15, vcc, v15, v19, vcc
	v_addc_co_u32_e32 v16, vcc, 0, v18, vcc
	v_mul_lo_u32 v14, v11, v14
	v_add_co_u32_e32 v14, vcc, v15, v14
	v_addc_co_u32_e32 v15, vcc, 0, v16, vcc
	v_add_co_u32_e32 v10, vcc, v10, v14
	v_addc_co_u32_e32 v11, vcc, v11, v15, vcc
	v_mul_lo_u32 v14, s2, v11
	v_mul_hi_u32 v15, s2, v10
	v_add_u32_e32 v14, v15, v14
	v_mul_lo_u32 v15, s3, v10
	v_add_u32_e32 v14, v14, v15
	v_mul_lo_u32 v16, s2, v10
	v_mul_hi_u32 v17, v11, v16
	v_mul_lo_u32 v18, v11, v16
	v_mul_lo_u32 v20, v10, v14
	v_mul_hi_u32 v16, v10, v16
	v_mul_hi_u32 v19, v10, v14
	v_add_co_u32_e32 v16, vcc, v16, v20
	v_addc_co_u32_e32 v19, vcc, 0, v19, vcc
	v_add_co_u32_e32 v16, vcc, v16, v18
	v_mul_hi_u32 v15, v11, v14
	v_addc_co_u32_e32 v16, vcc, v19, v17, vcc
	v_addc_co_u32_e32 v15, vcc, 0, v15, vcc
	v_mul_lo_u32 v14, v11, v14
	v_add_co_u32_e32 v14, vcc, v16, v14
	v_addc_co_u32_e32 v15, vcc, 0, v15, vcc
	v_add_co_u32_e32 v14, vcc, v10, v14
	v_addc_co_u32_e32 v15, vcc, v11, v15, vcc
	v_mad_u64_u32 v[10:11], s[2:3], v12, v15, 0
	v_mul_hi_u32 v16, v12, v14
	v_add_co_u32_e32 v16, vcc, v16, v10
	v_addc_co_u32_e32 v17, vcc, 0, v11, vcc
	v_mad_u64_u32 v[10:11], s[2:3], v13, v15, 0
	v_mad_u64_u32 v[14:15], s[2:3], v13, v14, 0
	v_add_co_u32_e32 v14, vcc, v16, v14
	v_addc_co_u32_e32 v14, vcc, v17, v15, vcc
	v_addc_co_u32_e32 v11, vcc, 0, v11, vcc
	v_add_co_u32_e32 v14, vcc, v14, v10
	v_addc_co_u32_e32 v15, vcc, 0, v11, vcc
	v_mul_lo_u32 v16, s47, v14
	v_mul_lo_u32 v17, s46, v15
	v_mad_u64_u32 v[10:11], s[2:3], s46, v14, 0
	v_add3_u32 v11, v11, v17, v16
	v_sub_u32_e32 v16, v13, v11
	v_mov_b32_e32 v17, s47
	v_sub_co_u32_e32 v10, vcc, v12, v10
	v_subb_co_u32_e64 v12, s[2:3], v16, v17, vcc
	v_subrev_co_u32_e64 v16, s[2:3], s46, v10
	v_subbrev_co_u32_e64 v12, s[2:3], 0, v12, s[2:3]
	v_cmp_le_u32_e64 s[2:3], s47, v12
	v_cndmask_b32_e64 v17, 0, -1, s[2:3]
	v_cmp_le_u32_e64 s[2:3], s46, v16
	v_cndmask_b32_e64 v16, 0, -1, s[2:3]
	v_cmp_eq_u32_e64 s[2:3], s47, v12
	v_cndmask_b32_e64 v12, v17, v16, s[2:3]
	v_add_co_u32_e64 v16, s[2:3], 2, v14
	v_subb_co_u32_e32 v11, vcc, v13, v11, vcc
	v_addc_co_u32_e64 v17, s[2:3], 0, v15, s[2:3]
	v_cmp_le_u32_e32 vcc, s47, v11
	v_add_co_u32_e64 v18, s[2:3], 1, v14
	v_cndmask_b32_e64 v13, 0, -1, vcc
	v_cmp_le_u32_e32 vcc, s46, v10
	v_addc_co_u32_e64 v19, s[2:3], 0, v15, s[2:3]
	v_cndmask_b32_e64 v10, 0, -1, vcc
	v_cmp_eq_u32_e32 vcc, s47, v11
	v_cmp_ne_u32_e64 s[2:3], 0, v12
	v_cndmask_b32_e32 v10, v13, v10, vcc
	v_cndmask_b32_e64 v12, v19, v17, s[2:3]
	v_cmp_ne_u32_e32 vcc, 0, v10
	v_cndmask_b32_e64 v10, v18, v16, s[2:3]
	v_cndmask_b32_e32 v11, v15, v12, vcc
	v_cndmask_b32_e32 v10, v14, v10, vcc
                                        ; implicit-def: $vgpr12
.LBB28_159:
	s_andn2_saveexec_b64 s[2:3], s[8:9]
	s_cbranch_execz .LBB28_161
; %bb.160:
	v_cvt_f32_u32_e32 v10, s46
	s_sub_i32 s8, 0, s46
	v_rcp_iflag_f32_e32 v10, v10
	v_mul_f32_e32 v10, 0x4f7ffffe, v10
	v_cvt_u32_f32_e32 v10, v10
	v_mul_lo_u32 v11, s8, v10
	v_mul_hi_u32 v11, v10, v11
	v_add_u32_e32 v10, v10, v11
	v_mul_hi_u32 v10, v12, v10
	v_mul_lo_u32 v11, v10, s46
	v_sub_u32_e32 v11, v12, v11
	v_add_u32_e32 v13, 1, v10
	v_subrev_u32_e32 v12, s46, v11
	v_cmp_le_u32_e32 vcc, s46, v11
	v_cndmask_b32_e32 v11, v11, v12, vcc
	v_cndmask_b32_e32 v10, v10, v13, vcc
	v_add_u32_e32 v12, 1, v10
	v_cmp_le_u32_e32 vcc, s46, v11
	v_cndmask_b32_e32 v10, v10, v12, vcc
	v_mov_b32_e32 v11, 0
.LBB28_161:
	s_or_b64 exec, exec, s[2:3]
	v_add_co_u32_e32 v14, vcc, 0x500, v28
	v_addc_co_u32_e32 v15, vcc, 0, v1, vcc
	v_or_b32_e32 v13, s47, v15
	v_mov_b32_e32 v12, 0
	v_cmp_ne_u64_e32 vcc, 0, v[12:13]
                                        ; implicit-def: $vgpr12_vgpr13
	s_and_saveexec_b64 s[2:3], vcc
	s_xor_b64 s[8:9], exec, s[2:3]
	s_cbranch_execz .LBB28_163
; %bb.162:
	v_cvt_f32_u32_e32 v12, s46
	v_cvt_f32_u32_e32 v13, s47
	s_sub_u32 s2, 0, s46
	s_subb_u32 s3, 0, s47
	v_madmk_f32 v12, v13, 0x4f800000, v12
	v_rcp_f32_e32 v12, v12
	v_mul_f32_e32 v12, 0x5f7ffffc, v12
	v_mul_f32_e32 v13, 0x2f800000, v12
	v_trunc_f32_e32 v13, v13
	v_madmk_f32 v12, v13, 0xcf800000, v12
	v_cvt_u32_f32_e32 v13, v13
	v_cvt_u32_f32_e32 v12, v12
	v_mul_lo_u32 v16, s2, v13
	v_mul_hi_u32 v18, s2, v12
	v_mul_lo_u32 v17, s3, v12
	v_add_u32_e32 v16, v18, v16
	v_mul_lo_u32 v19, s2, v12
	v_add_u32_e32 v16, v16, v17
	v_mul_hi_u32 v18, v12, v19
	v_mul_lo_u32 v20, v12, v16
	v_mul_hi_u32 v17, v12, v16
	v_add_co_u32_e32 v18, vcc, v18, v20
	v_addc_co_u32_e32 v17, vcc, 0, v17, vcc
	v_mul_hi_u32 v21, v13, v19
	v_mul_lo_u32 v19, v13, v19
	v_add_co_u32_e32 v18, vcc, v18, v19
	v_mul_hi_u32 v20, v13, v16
	v_addc_co_u32_e32 v17, vcc, v17, v21, vcc
	v_addc_co_u32_e32 v18, vcc, 0, v20, vcc
	v_mul_lo_u32 v16, v13, v16
	v_add_co_u32_e32 v16, vcc, v17, v16
	v_addc_co_u32_e32 v17, vcc, 0, v18, vcc
	v_add_co_u32_e32 v12, vcc, v12, v16
	v_addc_co_u32_e32 v13, vcc, v13, v17, vcc
	v_mul_lo_u32 v16, s2, v13
	v_mul_hi_u32 v17, s2, v12
	v_add_u32_e32 v16, v17, v16
	v_mul_lo_u32 v17, s3, v12
	v_add_u32_e32 v16, v16, v17
	v_mul_lo_u32 v18, s2, v12
	v_mul_hi_u32 v19, v13, v18
	v_mul_lo_u32 v20, v13, v18
	v_mul_lo_u32 v22, v12, v16
	v_mul_hi_u32 v18, v12, v18
	v_mul_hi_u32 v21, v12, v16
	v_add_co_u32_e32 v18, vcc, v18, v22
	v_addc_co_u32_e32 v21, vcc, 0, v21, vcc
	v_add_co_u32_e32 v18, vcc, v18, v20
	v_mul_hi_u32 v17, v13, v16
	v_addc_co_u32_e32 v18, vcc, v21, v19, vcc
	v_addc_co_u32_e32 v17, vcc, 0, v17, vcc
	v_mul_lo_u32 v16, v13, v16
	v_add_co_u32_e32 v16, vcc, v18, v16
	v_addc_co_u32_e32 v17, vcc, 0, v17, vcc
	v_add_co_u32_e32 v16, vcc, v12, v16
	v_addc_co_u32_e32 v17, vcc, v13, v17, vcc
	v_mad_u64_u32 v[12:13], s[2:3], v14, v17, 0
	v_mul_hi_u32 v18, v14, v16
	v_add_co_u32_e32 v18, vcc, v18, v12
	v_addc_co_u32_e32 v19, vcc, 0, v13, vcc
	v_mad_u64_u32 v[12:13], s[2:3], v15, v17, 0
	v_mad_u64_u32 v[16:17], s[2:3], v15, v16, 0
	v_add_co_u32_e32 v16, vcc, v18, v16
	v_addc_co_u32_e32 v16, vcc, v19, v17, vcc
	v_addc_co_u32_e32 v13, vcc, 0, v13, vcc
	v_add_co_u32_e32 v16, vcc, v16, v12
	v_addc_co_u32_e32 v17, vcc, 0, v13, vcc
	v_mul_lo_u32 v18, s47, v16
	v_mul_lo_u32 v19, s46, v17
	v_mad_u64_u32 v[12:13], s[2:3], s46, v16, 0
	v_add3_u32 v13, v13, v19, v18
	v_sub_u32_e32 v18, v15, v13
	v_mov_b32_e32 v19, s47
	v_sub_co_u32_e32 v12, vcc, v14, v12
	v_subb_co_u32_e64 v14, s[2:3], v18, v19, vcc
	v_subrev_co_u32_e64 v18, s[2:3], s46, v12
	v_subbrev_co_u32_e64 v14, s[2:3], 0, v14, s[2:3]
	v_cmp_le_u32_e64 s[2:3], s47, v14
	v_cndmask_b32_e64 v19, 0, -1, s[2:3]
	v_cmp_le_u32_e64 s[2:3], s46, v18
	v_cndmask_b32_e64 v18, 0, -1, s[2:3]
	v_cmp_eq_u32_e64 s[2:3], s47, v14
	v_cndmask_b32_e64 v14, v19, v18, s[2:3]
	v_add_co_u32_e64 v18, s[2:3], 2, v16
	v_subb_co_u32_e32 v13, vcc, v15, v13, vcc
	v_addc_co_u32_e64 v19, s[2:3], 0, v17, s[2:3]
	v_cmp_le_u32_e32 vcc, s47, v13
	v_add_co_u32_e64 v20, s[2:3], 1, v16
	v_cndmask_b32_e64 v15, 0, -1, vcc
	v_cmp_le_u32_e32 vcc, s46, v12
	v_addc_co_u32_e64 v21, s[2:3], 0, v17, s[2:3]
	v_cndmask_b32_e64 v12, 0, -1, vcc
	v_cmp_eq_u32_e32 vcc, s47, v13
	v_cmp_ne_u32_e64 s[2:3], 0, v14
	v_cndmask_b32_e32 v12, v15, v12, vcc
	v_cndmask_b32_e64 v14, v21, v19, s[2:3]
	v_cmp_ne_u32_e32 vcc, 0, v12
	v_cndmask_b32_e64 v12, v20, v18, s[2:3]
	v_cndmask_b32_e32 v13, v17, v14, vcc
	v_cndmask_b32_e32 v12, v16, v12, vcc
                                        ; implicit-def: $vgpr14
.LBB28_163:
	s_andn2_saveexec_b64 s[2:3], s[8:9]
	s_cbranch_execz .LBB28_165
; %bb.164:
	v_cvt_f32_u32_e32 v12, s46
	s_sub_i32 s8, 0, s46
	v_rcp_iflag_f32_e32 v12, v12
	v_mul_f32_e32 v12, 0x4f7ffffe, v12
	v_cvt_u32_f32_e32 v12, v12
	v_mul_lo_u32 v13, s8, v12
	v_mul_hi_u32 v13, v12, v13
	v_add_u32_e32 v12, v12, v13
	v_mul_hi_u32 v12, v14, v12
	v_mul_lo_u32 v13, v12, s46
	v_sub_u32_e32 v13, v14, v13
	v_add_u32_e32 v15, 1, v12
	v_subrev_u32_e32 v14, s46, v13
	v_cmp_le_u32_e32 vcc, s46, v13
	v_cndmask_b32_e32 v13, v13, v14, vcc
	v_cndmask_b32_e32 v12, v12, v15, vcc
	v_add_u32_e32 v14, 1, v12
	v_cmp_le_u32_e32 vcc, s46, v13
	v_cndmask_b32_e32 v12, v12, v14, vcc
	v_mov_b32_e32 v13, 0
.LBB28_165:
	s_or_b64 exec, exec, s[2:3]
	v_add_co_u32_e32 v16, vcc, 0x600, v28
	v_addc_co_u32_e32 v17, vcc, 0, v1, vcc
	v_or_b32_e32 v15, s47, v17
	v_mov_b32_e32 v14, 0
	v_cmp_ne_u64_e32 vcc, 0, v[14:15]
                                        ; implicit-def: $vgpr14_vgpr15
	s_and_saveexec_b64 s[2:3], vcc
	s_xor_b64 s[8:9], exec, s[2:3]
	s_cbranch_execz .LBB28_167
; %bb.166:
	v_cvt_f32_u32_e32 v14, s46
	v_cvt_f32_u32_e32 v15, s47
	s_sub_u32 s2, 0, s46
	s_subb_u32 s3, 0, s47
	v_madmk_f32 v14, v15, 0x4f800000, v14
	v_rcp_f32_e32 v14, v14
	v_mul_f32_e32 v14, 0x5f7ffffc, v14
	v_mul_f32_e32 v15, 0x2f800000, v14
	v_trunc_f32_e32 v15, v15
	v_madmk_f32 v14, v15, 0xcf800000, v14
	v_cvt_u32_f32_e32 v15, v15
	v_cvt_u32_f32_e32 v14, v14
	v_mul_lo_u32 v18, s2, v15
	v_mul_hi_u32 v20, s2, v14
	v_mul_lo_u32 v19, s3, v14
	v_add_u32_e32 v18, v20, v18
	v_mul_lo_u32 v21, s2, v14
	v_add_u32_e32 v18, v18, v19
	v_mul_hi_u32 v20, v14, v21
	v_mul_lo_u32 v22, v14, v18
	v_mul_hi_u32 v19, v14, v18
	v_add_co_u32_e32 v20, vcc, v20, v22
	v_addc_co_u32_e32 v19, vcc, 0, v19, vcc
	v_mul_hi_u32 v23, v15, v21
	v_mul_lo_u32 v21, v15, v21
	v_add_co_u32_e32 v20, vcc, v20, v21
	v_mul_hi_u32 v22, v15, v18
	v_addc_co_u32_e32 v19, vcc, v19, v23, vcc
	v_addc_co_u32_e32 v20, vcc, 0, v22, vcc
	v_mul_lo_u32 v18, v15, v18
	v_add_co_u32_e32 v18, vcc, v19, v18
	v_addc_co_u32_e32 v19, vcc, 0, v20, vcc
	v_add_co_u32_e32 v14, vcc, v14, v18
	v_addc_co_u32_e32 v15, vcc, v15, v19, vcc
	v_mul_lo_u32 v18, s2, v15
	v_mul_hi_u32 v19, s2, v14
	v_add_u32_e32 v18, v19, v18
	v_mul_lo_u32 v19, s3, v14
	v_add_u32_e32 v18, v18, v19
	v_mul_lo_u32 v20, s2, v14
	v_mul_hi_u32 v21, v15, v20
	v_mul_lo_u32 v22, v15, v20
	v_mul_lo_u32 v24, v14, v18
	v_mul_hi_u32 v20, v14, v20
	v_mul_hi_u32 v23, v14, v18
	v_add_co_u32_e32 v20, vcc, v20, v24
	v_addc_co_u32_e32 v23, vcc, 0, v23, vcc
	v_add_co_u32_e32 v20, vcc, v20, v22
	v_mul_hi_u32 v19, v15, v18
	v_addc_co_u32_e32 v20, vcc, v23, v21, vcc
	v_addc_co_u32_e32 v19, vcc, 0, v19, vcc
	v_mul_lo_u32 v18, v15, v18
	v_add_co_u32_e32 v18, vcc, v20, v18
	v_addc_co_u32_e32 v19, vcc, 0, v19, vcc
	v_add_co_u32_e32 v18, vcc, v14, v18
	v_addc_co_u32_e32 v19, vcc, v15, v19, vcc
	v_mad_u64_u32 v[14:15], s[2:3], v16, v19, 0
	v_mul_hi_u32 v20, v16, v18
	v_add_co_u32_e32 v20, vcc, v20, v14
	v_addc_co_u32_e32 v21, vcc, 0, v15, vcc
	v_mad_u64_u32 v[14:15], s[2:3], v17, v19, 0
	v_mad_u64_u32 v[18:19], s[2:3], v17, v18, 0
	v_add_co_u32_e32 v18, vcc, v20, v18
	v_addc_co_u32_e32 v18, vcc, v21, v19, vcc
	v_addc_co_u32_e32 v15, vcc, 0, v15, vcc
	v_add_co_u32_e32 v18, vcc, v18, v14
	v_addc_co_u32_e32 v19, vcc, 0, v15, vcc
	v_mul_lo_u32 v20, s47, v18
	v_mul_lo_u32 v21, s46, v19
	v_mad_u64_u32 v[14:15], s[2:3], s46, v18, 0
	v_add3_u32 v15, v15, v21, v20
	v_sub_u32_e32 v20, v17, v15
	v_mov_b32_e32 v21, s47
	v_sub_co_u32_e32 v14, vcc, v16, v14
	v_subb_co_u32_e64 v16, s[2:3], v20, v21, vcc
	v_subrev_co_u32_e64 v20, s[2:3], s46, v14
	v_subbrev_co_u32_e64 v16, s[2:3], 0, v16, s[2:3]
	v_cmp_le_u32_e64 s[2:3], s47, v16
	v_cndmask_b32_e64 v21, 0, -1, s[2:3]
	v_cmp_le_u32_e64 s[2:3], s46, v20
	v_cndmask_b32_e64 v20, 0, -1, s[2:3]
	v_cmp_eq_u32_e64 s[2:3], s47, v16
	v_cndmask_b32_e64 v16, v21, v20, s[2:3]
	v_add_co_u32_e64 v20, s[2:3], 2, v18
	v_subb_co_u32_e32 v15, vcc, v17, v15, vcc
	v_addc_co_u32_e64 v21, s[2:3], 0, v19, s[2:3]
	v_cmp_le_u32_e32 vcc, s47, v15
	v_add_co_u32_e64 v22, s[2:3], 1, v18
	v_cndmask_b32_e64 v17, 0, -1, vcc
	v_cmp_le_u32_e32 vcc, s46, v14
	v_addc_co_u32_e64 v23, s[2:3], 0, v19, s[2:3]
	v_cndmask_b32_e64 v14, 0, -1, vcc
	v_cmp_eq_u32_e32 vcc, s47, v15
	v_cmp_ne_u32_e64 s[2:3], 0, v16
	v_cndmask_b32_e32 v14, v17, v14, vcc
	v_cndmask_b32_e64 v16, v23, v21, s[2:3]
	v_cmp_ne_u32_e32 vcc, 0, v14
	v_cndmask_b32_e64 v14, v22, v20, s[2:3]
	v_cndmask_b32_e32 v15, v19, v16, vcc
	v_cndmask_b32_e32 v14, v18, v14, vcc
                                        ; implicit-def: $vgpr16
.LBB28_167:
	s_andn2_saveexec_b64 s[2:3], s[8:9]
	s_cbranch_execz .LBB28_169
; %bb.168:
	v_cvt_f32_u32_e32 v14, s46
	s_sub_i32 s8, 0, s46
	v_rcp_iflag_f32_e32 v14, v14
	v_mul_f32_e32 v14, 0x4f7ffffe, v14
	v_cvt_u32_f32_e32 v14, v14
	v_mul_lo_u32 v15, s8, v14
	v_mul_hi_u32 v15, v14, v15
	v_add_u32_e32 v14, v14, v15
	v_mul_hi_u32 v14, v16, v14
	v_mul_lo_u32 v15, v14, s46
	v_sub_u32_e32 v15, v16, v15
	v_add_u32_e32 v17, 1, v14
	v_subrev_u32_e32 v16, s46, v15
	v_cmp_le_u32_e32 vcc, s46, v15
	v_cndmask_b32_e32 v15, v15, v16, vcc
	v_cndmask_b32_e32 v14, v14, v17, vcc
	v_add_u32_e32 v16, 1, v14
	v_cmp_le_u32_e32 vcc, s46, v15
	v_cndmask_b32_e32 v14, v14, v16, vcc
	v_mov_b32_e32 v15, 0
.LBB28_169:
	s_or_b64 exec, exec, s[2:3]
	v_add_co_u32_e32 v18, vcc, 0x700, v28
	v_addc_co_u32_e32 v19, vcc, 0, v1, vcc
	v_or_b32_e32 v17, s47, v19
	v_mov_b32_e32 v16, 0
	v_cmp_ne_u64_e32 vcc, 0, v[16:17]
                                        ; implicit-def: $vgpr16_vgpr17
	s_and_saveexec_b64 s[2:3], vcc
	s_xor_b64 s[8:9], exec, s[2:3]
	s_cbranch_execz .LBB28_171
; %bb.170:
	v_cvt_f32_u32_e32 v16, s46
	v_cvt_f32_u32_e32 v17, s47
	s_sub_u32 s2, 0, s46
	s_subb_u32 s3, 0, s47
	v_madmk_f32 v16, v17, 0x4f800000, v16
	v_rcp_f32_e32 v16, v16
	v_mul_f32_e32 v16, 0x5f7ffffc, v16
	v_mul_f32_e32 v17, 0x2f800000, v16
	v_trunc_f32_e32 v17, v17
	v_madmk_f32 v16, v17, 0xcf800000, v16
	v_cvt_u32_f32_e32 v17, v17
	v_cvt_u32_f32_e32 v16, v16
	v_mul_lo_u32 v20, s2, v17
	v_mul_hi_u32 v22, s2, v16
	v_mul_lo_u32 v21, s3, v16
	v_add_u32_e32 v20, v22, v20
	v_mul_lo_u32 v23, s2, v16
	v_add_u32_e32 v20, v20, v21
	v_mul_hi_u32 v22, v16, v23
	v_mul_lo_u32 v24, v16, v20
	v_mul_hi_u32 v21, v16, v20
	v_add_co_u32_e32 v22, vcc, v22, v24
	v_addc_co_u32_e32 v21, vcc, 0, v21, vcc
	v_mul_hi_u32 v25, v17, v23
	v_mul_lo_u32 v23, v17, v23
	v_add_co_u32_e32 v22, vcc, v22, v23
	v_mul_hi_u32 v24, v17, v20
	v_addc_co_u32_e32 v21, vcc, v21, v25, vcc
	v_addc_co_u32_e32 v22, vcc, 0, v24, vcc
	v_mul_lo_u32 v20, v17, v20
	v_add_co_u32_e32 v20, vcc, v21, v20
	v_addc_co_u32_e32 v21, vcc, 0, v22, vcc
	v_add_co_u32_e32 v16, vcc, v16, v20
	v_addc_co_u32_e32 v17, vcc, v17, v21, vcc
	v_mul_lo_u32 v20, s2, v17
	v_mul_hi_u32 v21, s2, v16
	v_add_u32_e32 v20, v21, v20
	v_mul_lo_u32 v21, s3, v16
	v_add_u32_e32 v20, v20, v21
	v_mul_lo_u32 v22, s2, v16
	v_mul_hi_u32 v23, v17, v22
	v_mul_lo_u32 v24, v17, v22
	v_mul_lo_u32 v26, v16, v20
	v_mul_hi_u32 v22, v16, v22
	v_mul_hi_u32 v25, v16, v20
	v_add_co_u32_e32 v22, vcc, v22, v26
	v_addc_co_u32_e32 v25, vcc, 0, v25, vcc
	v_add_co_u32_e32 v22, vcc, v22, v24
	v_mul_hi_u32 v21, v17, v20
	v_addc_co_u32_e32 v22, vcc, v25, v23, vcc
	v_addc_co_u32_e32 v21, vcc, 0, v21, vcc
	v_mul_lo_u32 v20, v17, v20
	v_add_co_u32_e32 v20, vcc, v22, v20
	v_addc_co_u32_e32 v21, vcc, 0, v21, vcc
	v_add_co_u32_e32 v20, vcc, v16, v20
	v_addc_co_u32_e32 v21, vcc, v17, v21, vcc
	v_mad_u64_u32 v[16:17], s[2:3], v18, v21, 0
	v_mul_hi_u32 v22, v18, v20
	v_add_co_u32_e32 v22, vcc, v22, v16
	v_addc_co_u32_e32 v23, vcc, 0, v17, vcc
	v_mad_u64_u32 v[16:17], s[2:3], v19, v21, 0
	v_mad_u64_u32 v[20:21], s[2:3], v19, v20, 0
	v_add_co_u32_e32 v20, vcc, v22, v20
	v_addc_co_u32_e32 v20, vcc, v23, v21, vcc
	v_addc_co_u32_e32 v17, vcc, 0, v17, vcc
	v_add_co_u32_e32 v20, vcc, v20, v16
	v_addc_co_u32_e32 v21, vcc, 0, v17, vcc
	v_mul_lo_u32 v22, s47, v20
	v_mul_lo_u32 v23, s46, v21
	v_mad_u64_u32 v[16:17], s[2:3], s46, v20, 0
	v_add3_u32 v17, v17, v23, v22
	v_sub_u32_e32 v22, v19, v17
	v_mov_b32_e32 v23, s47
	v_sub_co_u32_e32 v16, vcc, v18, v16
	v_subb_co_u32_e64 v18, s[2:3], v22, v23, vcc
	v_subrev_co_u32_e64 v22, s[2:3], s46, v16
	v_subbrev_co_u32_e64 v18, s[2:3], 0, v18, s[2:3]
	v_cmp_le_u32_e64 s[2:3], s47, v18
	v_cndmask_b32_e64 v23, 0, -1, s[2:3]
	v_cmp_le_u32_e64 s[2:3], s46, v22
	v_cndmask_b32_e64 v22, 0, -1, s[2:3]
	v_cmp_eq_u32_e64 s[2:3], s47, v18
	v_cndmask_b32_e64 v18, v23, v22, s[2:3]
	v_add_co_u32_e64 v22, s[2:3], 2, v20
	v_subb_co_u32_e32 v17, vcc, v19, v17, vcc
	v_addc_co_u32_e64 v23, s[2:3], 0, v21, s[2:3]
	v_cmp_le_u32_e32 vcc, s47, v17
	v_add_co_u32_e64 v24, s[2:3], 1, v20
	v_cndmask_b32_e64 v19, 0, -1, vcc
	v_cmp_le_u32_e32 vcc, s46, v16
	v_addc_co_u32_e64 v25, s[2:3], 0, v21, s[2:3]
	v_cndmask_b32_e64 v16, 0, -1, vcc
	v_cmp_eq_u32_e32 vcc, s47, v17
	v_cmp_ne_u32_e64 s[2:3], 0, v18
	v_cndmask_b32_e32 v16, v19, v16, vcc
	v_cndmask_b32_e64 v18, v25, v23, s[2:3]
	v_cmp_ne_u32_e32 vcc, 0, v16
	v_cndmask_b32_e64 v16, v24, v22, s[2:3]
	v_cndmask_b32_e32 v17, v21, v18, vcc
	v_cndmask_b32_e32 v16, v20, v16, vcc
                                        ; implicit-def: $vgpr18
.LBB28_171:
	s_andn2_saveexec_b64 s[2:3], s[8:9]
	s_cbranch_execz .LBB28_173
; %bb.172:
	v_cvt_f32_u32_e32 v16, s46
	s_sub_i32 s8, 0, s46
	v_rcp_iflag_f32_e32 v16, v16
	v_mul_f32_e32 v16, 0x4f7ffffe, v16
	v_cvt_u32_f32_e32 v16, v16
	v_mul_lo_u32 v17, s8, v16
	v_mul_hi_u32 v17, v16, v17
	v_add_u32_e32 v16, v16, v17
	v_mul_hi_u32 v16, v18, v16
	v_mul_lo_u32 v17, v16, s46
	v_sub_u32_e32 v17, v18, v17
	v_add_u32_e32 v19, 1, v16
	v_subrev_u32_e32 v18, s46, v17
	v_cmp_le_u32_e32 vcc, s46, v17
	v_cndmask_b32_e32 v17, v17, v18, vcc
	v_cndmask_b32_e32 v16, v16, v19, vcc
	v_add_u32_e32 v18, 1, v16
	v_cmp_le_u32_e32 vcc, s46, v17
	v_cndmask_b32_e32 v16, v16, v18, vcc
	v_mov_b32_e32 v17, 0
.LBB28_173:
	s_or_b64 exec, exec, s[2:3]
	v_add_co_u32_e32 v20, vcc, 0x800, v28
	v_addc_co_u32_e32 v21, vcc, 0, v1, vcc
	v_or_b32_e32 v19, s47, v21
	v_mov_b32_e32 v18, 0
	v_cmp_ne_u64_e32 vcc, 0, v[18:19]
                                        ; implicit-def: $vgpr18_vgpr19
	s_and_saveexec_b64 s[2:3], vcc
	s_xor_b64 s[8:9], exec, s[2:3]
	s_cbranch_execz .LBB28_175
; %bb.174:
	v_cvt_f32_u32_e32 v18, s46
	v_cvt_f32_u32_e32 v19, s47
	s_sub_u32 s2, 0, s46
	s_subb_u32 s3, 0, s47
	v_madmk_f32 v18, v19, 0x4f800000, v18
	v_rcp_f32_e32 v18, v18
	v_mul_f32_e32 v18, 0x5f7ffffc, v18
	v_mul_f32_e32 v19, 0x2f800000, v18
	v_trunc_f32_e32 v19, v19
	v_madmk_f32 v18, v19, 0xcf800000, v18
	v_cvt_u32_f32_e32 v19, v19
	v_cvt_u32_f32_e32 v18, v18
	v_mul_lo_u32 v22, s2, v19
	v_mul_hi_u32 v24, s2, v18
	v_mul_lo_u32 v23, s3, v18
	v_add_u32_e32 v22, v24, v22
	v_mul_lo_u32 v25, s2, v18
	v_add_u32_e32 v22, v22, v23
	v_mul_hi_u32 v24, v18, v25
	v_mul_lo_u32 v26, v18, v22
	v_mul_hi_u32 v23, v18, v22
	v_add_co_u32_e32 v24, vcc, v24, v26
	v_addc_co_u32_e32 v23, vcc, 0, v23, vcc
	v_mul_hi_u32 v27, v19, v25
	v_mul_lo_u32 v25, v19, v25
	v_add_co_u32_e32 v24, vcc, v24, v25
	v_mul_hi_u32 v26, v19, v22
	v_addc_co_u32_e32 v23, vcc, v23, v27, vcc
	v_addc_co_u32_e32 v24, vcc, 0, v26, vcc
	v_mul_lo_u32 v22, v19, v22
	v_add_co_u32_e32 v22, vcc, v23, v22
	v_addc_co_u32_e32 v23, vcc, 0, v24, vcc
	v_add_co_u32_e32 v18, vcc, v18, v22
	v_addc_co_u32_e32 v19, vcc, v19, v23, vcc
	v_mul_lo_u32 v22, s2, v19
	v_mul_hi_u32 v23, s2, v18
	v_add_u32_e32 v22, v23, v22
	v_mul_lo_u32 v23, s3, v18
	v_add_u32_e32 v22, v22, v23
	v_mul_lo_u32 v24, s2, v18
	v_mul_hi_u32 v25, v19, v24
	v_mul_lo_u32 v26, v19, v24
	v_mul_lo_u32 v29, v18, v22
	v_mul_hi_u32 v24, v18, v24
	v_mul_hi_u32 v27, v18, v22
	v_add_co_u32_e32 v24, vcc, v24, v29
	v_addc_co_u32_e32 v27, vcc, 0, v27, vcc
	v_add_co_u32_e32 v24, vcc, v24, v26
	v_mul_hi_u32 v23, v19, v22
	v_addc_co_u32_e32 v24, vcc, v27, v25, vcc
	v_addc_co_u32_e32 v23, vcc, 0, v23, vcc
	v_mul_lo_u32 v22, v19, v22
	v_add_co_u32_e32 v22, vcc, v24, v22
	v_addc_co_u32_e32 v23, vcc, 0, v23, vcc
	v_add_co_u32_e32 v22, vcc, v18, v22
	v_addc_co_u32_e32 v23, vcc, v19, v23, vcc
	v_mad_u64_u32 v[18:19], s[2:3], v20, v23, 0
	v_mul_hi_u32 v24, v20, v22
	v_add_co_u32_e32 v24, vcc, v24, v18
	v_addc_co_u32_e32 v25, vcc, 0, v19, vcc
	v_mad_u64_u32 v[18:19], s[2:3], v21, v23, 0
	v_mad_u64_u32 v[22:23], s[2:3], v21, v22, 0
	v_add_co_u32_e32 v22, vcc, v24, v22
	v_addc_co_u32_e32 v22, vcc, v25, v23, vcc
	v_addc_co_u32_e32 v19, vcc, 0, v19, vcc
	v_add_co_u32_e32 v22, vcc, v22, v18
	v_addc_co_u32_e32 v23, vcc, 0, v19, vcc
	v_mul_lo_u32 v24, s47, v22
	v_mul_lo_u32 v25, s46, v23
	v_mad_u64_u32 v[18:19], s[2:3], s46, v22, 0
	v_add3_u32 v19, v19, v25, v24
	v_sub_u32_e32 v24, v21, v19
	v_mov_b32_e32 v25, s47
	v_sub_co_u32_e32 v18, vcc, v20, v18
	v_subb_co_u32_e64 v20, s[2:3], v24, v25, vcc
	v_subrev_co_u32_e64 v24, s[2:3], s46, v18
	v_subbrev_co_u32_e64 v20, s[2:3], 0, v20, s[2:3]
	v_cmp_le_u32_e64 s[2:3], s47, v20
	v_cndmask_b32_e64 v25, 0, -1, s[2:3]
	v_cmp_le_u32_e64 s[2:3], s46, v24
	v_cndmask_b32_e64 v24, 0, -1, s[2:3]
	v_cmp_eq_u32_e64 s[2:3], s47, v20
	v_cndmask_b32_e64 v20, v25, v24, s[2:3]
	v_add_co_u32_e64 v24, s[2:3], 2, v22
	v_subb_co_u32_e32 v19, vcc, v21, v19, vcc
	v_addc_co_u32_e64 v25, s[2:3], 0, v23, s[2:3]
	v_cmp_le_u32_e32 vcc, s47, v19
	v_add_co_u32_e64 v26, s[2:3], 1, v22
	v_cndmask_b32_e64 v21, 0, -1, vcc
	v_cmp_le_u32_e32 vcc, s46, v18
	v_addc_co_u32_e64 v27, s[2:3], 0, v23, s[2:3]
	v_cndmask_b32_e64 v18, 0, -1, vcc
	v_cmp_eq_u32_e32 vcc, s47, v19
	v_cmp_ne_u32_e64 s[2:3], 0, v20
	v_cndmask_b32_e32 v18, v21, v18, vcc
	v_cndmask_b32_e64 v20, v27, v25, s[2:3]
	v_cmp_ne_u32_e32 vcc, 0, v18
	v_cndmask_b32_e64 v18, v26, v24, s[2:3]
	v_cndmask_b32_e32 v19, v23, v20, vcc
	v_cndmask_b32_e32 v18, v22, v18, vcc
                                        ; implicit-def: $vgpr20
.LBB28_175:
	s_andn2_saveexec_b64 s[2:3], s[8:9]
	s_cbranch_execz .LBB28_177
; %bb.176:
	v_cvt_f32_u32_e32 v18, s46
	s_sub_i32 s8, 0, s46
	v_rcp_iflag_f32_e32 v18, v18
	v_mul_f32_e32 v18, 0x4f7ffffe, v18
	v_cvt_u32_f32_e32 v18, v18
	v_mul_lo_u32 v19, s8, v18
	v_mul_hi_u32 v19, v18, v19
	v_add_u32_e32 v18, v18, v19
	v_mul_hi_u32 v18, v20, v18
	v_mul_lo_u32 v19, v18, s46
	v_sub_u32_e32 v19, v20, v19
	v_add_u32_e32 v21, 1, v18
	v_subrev_u32_e32 v20, s46, v19
	v_cmp_le_u32_e32 vcc, s46, v19
	v_cndmask_b32_e32 v19, v19, v20, vcc
	v_cndmask_b32_e32 v18, v18, v21, vcc
	v_add_u32_e32 v20, 1, v18
	v_cmp_le_u32_e32 vcc, s46, v19
	v_cndmask_b32_e32 v18, v18, v20, vcc
	v_mov_b32_e32 v19, 0
.LBB28_177:
	s_or_b64 exec, exec, s[2:3]
	v_add_co_u32_e32 v22, vcc, 0x900, v28
	v_addc_co_u32_e32 v23, vcc, 0, v1, vcc
	v_or_b32_e32 v21, s47, v23
	v_mov_b32_e32 v20, 0
	v_cmp_ne_u64_e32 vcc, 0, v[20:21]
                                        ; implicit-def: $vgpr20_vgpr21
	s_and_saveexec_b64 s[2:3], vcc
	s_xor_b64 s[8:9], exec, s[2:3]
	s_cbranch_execz .LBB28_179
; %bb.178:
	v_cvt_f32_u32_e32 v20, s46
	v_cvt_f32_u32_e32 v21, s47
	s_sub_u32 s2, 0, s46
	s_subb_u32 s3, 0, s47
	v_madmk_f32 v20, v21, 0x4f800000, v20
	v_rcp_f32_e32 v20, v20
	v_mul_f32_e32 v20, 0x5f7ffffc, v20
	v_mul_f32_e32 v21, 0x2f800000, v20
	v_trunc_f32_e32 v21, v21
	v_madmk_f32 v20, v21, 0xcf800000, v20
	v_cvt_u32_f32_e32 v21, v21
	v_cvt_u32_f32_e32 v20, v20
	v_mul_lo_u32 v24, s2, v21
	v_mul_hi_u32 v26, s2, v20
	v_mul_lo_u32 v25, s3, v20
	v_add_u32_e32 v24, v26, v24
	v_mul_lo_u32 v27, s2, v20
	v_add_u32_e32 v24, v24, v25
	v_mul_hi_u32 v26, v20, v27
	v_mul_lo_u32 v29, v20, v24
	v_mul_hi_u32 v25, v20, v24
	v_add_co_u32_e32 v26, vcc, v26, v29
	v_addc_co_u32_e32 v25, vcc, 0, v25, vcc
	v_mul_hi_u32 v30, v21, v27
	v_mul_lo_u32 v27, v21, v27
	v_add_co_u32_e32 v26, vcc, v26, v27
	v_mul_hi_u32 v29, v21, v24
	v_addc_co_u32_e32 v25, vcc, v25, v30, vcc
	v_addc_co_u32_e32 v26, vcc, 0, v29, vcc
	v_mul_lo_u32 v24, v21, v24
	v_add_co_u32_e32 v24, vcc, v25, v24
	v_addc_co_u32_e32 v25, vcc, 0, v26, vcc
	v_add_co_u32_e32 v20, vcc, v20, v24
	v_addc_co_u32_e32 v21, vcc, v21, v25, vcc
	v_mul_lo_u32 v24, s2, v21
	v_mul_hi_u32 v25, s2, v20
	v_add_u32_e32 v24, v25, v24
	v_mul_lo_u32 v25, s3, v20
	v_add_u32_e32 v24, v24, v25
	v_mul_lo_u32 v26, s2, v20
	v_mul_hi_u32 v27, v21, v26
	v_mul_lo_u32 v29, v21, v26
	v_mul_lo_u32 v31, v20, v24
	v_mul_hi_u32 v26, v20, v26
	v_mul_hi_u32 v30, v20, v24
	v_add_co_u32_e32 v26, vcc, v26, v31
	v_addc_co_u32_e32 v30, vcc, 0, v30, vcc
	v_add_co_u32_e32 v26, vcc, v26, v29
	v_mul_hi_u32 v25, v21, v24
	v_addc_co_u32_e32 v26, vcc, v30, v27, vcc
	v_addc_co_u32_e32 v25, vcc, 0, v25, vcc
	v_mul_lo_u32 v24, v21, v24
	v_add_co_u32_e32 v24, vcc, v26, v24
	v_addc_co_u32_e32 v25, vcc, 0, v25, vcc
	v_add_co_u32_e32 v24, vcc, v20, v24
	v_addc_co_u32_e32 v25, vcc, v21, v25, vcc
	v_mad_u64_u32 v[20:21], s[2:3], v22, v25, 0
	v_mul_hi_u32 v26, v22, v24
	v_add_co_u32_e32 v26, vcc, v26, v20
	v_addc_co_u32_e32 v27, vcc, 0, v21, vcc
	v_mad_u64_u32 v[20:21], s[2:3], v23, v25, 0
	v_mad_u64_u32 v[24:25], s[2:3], v23, v24, 0
	v_add_co_u32_e32 v24, vcc, v26, v24
	v_addc_co_u32_e32 v24, vcc, v27, v25, vcc
	v_addc_co_u32_e32 v21, vcc, 0, v21, vcc
	v_add_co_u32_e32 v24, vcc, v24, v20
	v_addc_co_u32_e32 v25, vcc, 0, v21, vcc
	v_mul_lo_u32 v26, s47, v24
	v_mul_lo_u32 v27, s46, v25
	v_mad_u64_u32 v[20:21], s[2:3], s46, v24, 0
	v_add3_u32 v21, v21, v27, v26
	v_sub_u32_e32 v26, v23, v21
	v_mov_b32_e32 v27, s47
	v_sub_co_u32_e32 v20, vcc, v22, v20
	v_subb_co_u32_e64 v22, s[2:3], v26, v27, vcc
	v_subrev_co_u32_e64 v26, s[2:3], s46, v20
	v_subbrev_co_u32_e64 v22, s[2:3], 0, v22, s[2:3]
	v_cmp_le_u32_e64 s[2:3], s47, v22
	v_cndmask_b32_e64 v27, 0, -1, s[2:3]
	v_cmp_le_u32_e64 s[2:3], s46, v26
	v_cndmask_b32_e64 v26, 0, -1, s[2:3]
	v_cmp_eq_u32_e64 s[2:3], s47, v22
	v_cndmask_b32_e64 v22, v27, v26, s[2:3]
	v_add_co_u32_e64 v26, s[2:3], 2, v24
	v_subb_co_u32_e32 v21, vcc, v23, v21, vcc
	v_addc_co_u32_e64 v27, s[2:3], 0, v25, s[2:3]
	v_cmp_le_u32_e32 vcc, s47, v21
	v_add_co_u32_e64 v29, s[2:3], 1, v24
	v_cndmask_b32_e64 v23, 0, -1, vcc
	v_cmp_le_u32_e32 vcc, s46, v20
	v_addc_co_u32_e64 v30, s[2:3], 0, v25, s[2:3]
	v_cndmask_b32_e64 v20, 0, -1, vcc
	v_cmp_eq_u32_e32 vcc, s47, v21
	v_cmp_ne_u32_e64 s[2:3], 0, v22
	v_cndmask_b32_e32 v20, v23, v20, vcc
	v_cndmask_b32_e64 v22, v30, v27, s[2:3]
	v_cmp_ne_u32_e32 vcc, 0, v20
	v_cndmask_b32_e64 v20, v29, v26, s[2:3]
	v_cndmask_b32_e32 v21, v25, v22, vcc
	v_cndmask_b32_e32 v20, v24, v20, vcc
                                        ; implicit-def: $vgpr22
.LBB28_179:
	s_andn2_saveexec_b64 s[2:3], s[8:9]
	s_cbranch_execz .LBB28_181
; %bb.180:
	v_cvt_f32_u32_e32 v20, s46
	s_sub_i32 s8, 0, s46
	v_rcp_iflag_f32_e32 v20, v20
	v_mul_f32_e32 v20, 0x4f7ffffe, v20
	v_cvt_u32_f32_e32 v20, v20
	v_mul_lo_u32 v21, s8, v20
	v_mul_hi_u32 v21, v20, v21
	v_add_u32_e32 v20, v20, v21
	v_mul_hi_u32 v20, v22, v20
	v_mul_lo_u32 v21, v20, s46
	v_sub_u32_e32 v21, v22, v21
	v_add_u32_e32 v23, 1, v20
	v_subrev_u32_e32 v22, s46, v21
	v_cmp_le_u32_e32 vcc, s46, v21
	v_cndmask_b32_e32 v21, v21, v22, vcc
	v_cndmask_b32_e32 v20, v20, v23, vcc
	v_add_u32_e32 v22, 1, v20
	v_cmp_le_u32_e32 vcc, s46, v21
	v_cndmask_b32_e32 v20, v20, v22, vcc
	v_mov_b32_e32 v21, 0
.LBB28_181:
	s_or_b64 exec, exec, s[2:3]
	v_add_co_u32_e32 v24, vcc, 0xa00, v28
	v_addc_co_u32_e32 v25, vcc, 0, v1, vcc
	v_or_b32_e32 v23, s47, v25
	v_mov_b32_e32 v22, 0
	v_cmp_ne_u64_e32 vcc, 0, v[22:23]
                                        ; implicit-def: $vgpr22_vgpr23
	s_and_saveexec_b64 s[2:3], vcc
	s_xor_b64 s[8:9], exec, s[2:3]
	s_cbranch_execz .LBB28_183
; %bb.182:
	v_cvt_f32_u32_e32 v22, s46
	v_cvt_f32_u32_e32 v23, s47
	s_sub_u32 s2, 0, s46
	s_subb_u32 s3, 0, s47
	v_madmk_f32 v22, v23, 0x4f800000, v22
	v_rcp_f32_e32 v22, v22
	v_mul_f32_e32 v22, 0x5f7ffffc, v22
	v_mul_f32_e32 v23, 0x2f800000, v22
	v_trunc_f32_e32 v23, v23
	v_madmk_f32 v22, v23, 0xcf800000, v22
	v_cvt_u32_f32_e32 v23, v23
	v_cvt_u32_f32_e32 v22, v22
	v_mul_lo_u32 v26, s2, v23
	v_mul_hi_u32 v29, s2, v22
	v_mul_lo_u32 v27, s3, v22
	v_add_u32_e32 v26, v29, v26
	v_mul_lo_u32 v30, s2, v22
	v_add_u32_e32 v26, v26, v27
	v_mul_hi_u32 v29, v22, v30
	v_mul_lo_u32 v31, v22, v26
	v_mul_hi_u32 v27, v22, v26
	v_add_co_u32_e32 v29, vcc, v29, v31
	v_addc_co_u32_e32 v27, vcc, 0, v27, vcc
	v_mul_hi_u32 v32, v23, v30
	v_mul_lo_u32 v30, v23, v30
	v_add_co_u32_e32 v29, vcc, v29, v30
	v_mul_hi_u32 v31, v23, v26
	v_addc_co_u32_e32 v27, vcc, v27, v32, vcc
	v_addc_co_u32_e32 v29, vcc, 0, v31, vcc
	v_mul_lo_u32 v26, v23, v26
	v_add_co_u32_e32 v26, vcc, v27, v26
	v_addc_co_u32_e32 v27, vcc, 0, v29, vcc
	v_add_co_u32_e32 v22, vcc, v22, v26
	v_addc_co_u32_e32 v23, vcc, v23, v27, vcc
	v_mul_lo_u32 v26, s2, v23
	v_mul_hi_u32 v27, s2, v22
	v_add_u32_e32 v26, v27, v26
	v_mul_lo_u32 v27, s3, v22
	v_add_u32_e32 v26, v26, v27
	v_mul_lo_u32 v29, s2, v22
	v_mul_hi_u32 v30, v23, v29
	v_mul_lo_u32 v31, v23, v29
	v_mul_lo_u32 v33, v22, v26
	v_mul_hi_u32 v29, v22, v29
	v_mul_hi_u32 v32, v22, v26
	v_add_co_u32_e32 v29, vcc, v29, v33
	v_addc_co_u32_e32 v32, vcc, 0, v32, vcc
	v_add_co_u32_e32 v29, vcc, v29, v31
	v_mul_hi_u32 v27, v23, v26
	v_addc_co_u32_e32 v29, vcc, v32, v30, vcc
	v_addc_co_u32_e32 v27, vcc, 0, v27, vcc
	v_mul_lo_u32 v26, v23, v26
	v_add_co_u32_e32 v26, vcc, v29, v26
	v_addc_co_u32_e32 v27, vcc, 0, v27, vcc
	v_add_co_u32_e32 v26, vcc, v22, v26
	v_addc_co_u32_e32 v27, vcc, v23, v27, vcc
	v_mad_u64_u32 v[22:23], s[2:3], v24, v27, 0
	v_mul_hi_u32 v29, v24, v26
	v_add_co_u32_e32 v29, vcc, v29, v22
	v_addc_co_u32_e32 v30, vcc, 0, v23, vcc
	v_mad_u64_u32 v[22:23], s[2:3], v25, v27, 0
	v_mad_u64_u32 v[26:27], s[2:3], v25, v26, 0
	v_add_co_u32_e32 v26, vcc, v29, v26
	v_addc_co_u32_e32 v26, vcc, v30, v27, vcc
	v_addc_co_u32_e32 v23, vcc, 0, v23, vcc
	v_add_co_u32_e32 v26, vcc, v26, v22
	v_addc_co_u32_e32 v27, vcc, 0, v23, vcc
	v_mul_lo_u32 v29, s47, v26
	v_mul_lo_u32 v30, s46, v27
	v_mad_u64_u32 v[22:23], s[2:3], s46, v26, 0
	v_add3_u32 v23, v23, v30, v29
	v_sub_u32_e32 v29, v25, v23
	v_mov_b32_e32 v30, s47
	v_sub_co_u32_e32 v22, vcc, v24, v22
	v_subb_co_u32_e64 v24, s[2:3], v29, v30, vcc
	v_subrev_co_u32_e64 v29, s[2:3], s46, v22
	v_subbrev_co_u32_e64 v24, s[2:3], 0, v24, s[2:3]
	v_cmp_le_u32_e64 s[2:3], s47, v24
	v_cndmask_b32_e64 v30, 0, -1, s[2:3]
	v_cmp_le_u32_e64 s[2:3], s46, v29
	v_cndmask_b32_e64 v29, 0, -1, s[2:3]
	v_cmp_eq_u32_e64 s[2:3], s47, v24
	v_cndmask_b32_e64 v24, v30, v29, s[2:3]
	v_add_co_u32_e64 v29, s[2:3], 2, v26
	v_subb_co_u32_e32 v23, vcc, v25, v23, vcc
	v_addc_co_u32_e64 v30, s[2:3], 0, v27, s[2:3]
	v_cmp_le_u32_e32 vcc, s47, v23
	v_add_co_u32_e64 v31, s[2:3], 1, v26
	v_cndmask_b32_e64 v25, 0, -1, vcc
	v_cmp_le_u32_e32 vcc, s46, v22
	v_addc_co_u32_e64 v32, s[2:3], 0, v27, s[2:3]
	v_cndmask_b32_e64 v22, 0, -1, vcc
	v_cmp_eq_u32_e32 vcc, s47, v23
	v_cmp_ne_u32_e64 s[2:3], 0, v24
	v_cndmask_b32_e32 v22, v25, v22, vcc
	v_cndmask_b32_e64 v24, v32, v30, s[2:3]
	v_cmp_ne_u32_e32 vcc, 0, v22
	v_cndmask_b32_e64 v22, v31, v29, s[2:3]
	v_cndmask_b32_e32 v23, v27, v24, vcc
	v_cndmask_b32_e32 v22, v26, v22, vcc
                                        ; implicit-def: $vgpr24
.LBB28_183:
	s_andn2_saveexec_b64 s[2:3], s[8:9]
	s_cbranch_execz .LBB28_185
; %bb.184:
	v_cvt_f32_u32_e32 v22, s46
	s_sub_i32 s8, 0, s46
	v_rcp_iflag_f32_e32 v22, v22
	v_mul_f32_e32 v22, 0x4f7ffffe, v22
	v_cvt_u32_f32_e32 v22, v22
	v_mul_lo_u32 v23, s8, v22
	v_mul_hi_u32 v23, v22, v23
	v_add_u32_e32 v22, v22, v23
	v_mul_hi_u32 v22, v24, v22
	v_mul_lo_u32 v23, v22, s46
	v_sub_u32_e32 v23, v24, v23
	v_add_u32_e32 v25, 1, v22
	v_subrev_u32_e32 v24, s46, v23
	v_cmp_le_u32_e32 vcc, s46, v23
	v_cndmask_b32_e32 v23, v23, v24, vcc
	v_cndmask_b32_e32 v22, v22, v25, vcc
	v_add_u32_e32 v24, 1, v22
	v_cmp_le_u32_e32 vcc, s46, v23
	v_cndmask_b32_e32 v22, v22, v24, vcc
	v_mov_b32_e32 v23, 0
.LBB28_185:
	s_or_b64 exec, exec, s[2:3]
	v_add_co_u32_e32 v26, vcc, 0xb00, v28
	v_addc_co_u32_e32 v27, vcc, 0, v1, vcc
	v_or_b32_e32 v25, s47, v27
	v_mov_b32_e32 v24, 0
	v_cmp_ne_u64_e32 vcc, 0, v[24:25]
                                        ; implicit-def: $vgpr24_vgpr25
	s_and_saveexec_b64 s[2:3], vcc
	s_xor_b64 s[8:9], exec, s[2:3]
	s_cbranch_execz .LBB28_187
; %bb.186:
	v_cvt_f32_u32_e32 v24, s46
	v_cvt_f32_u32_e32 v25, s47
	s_sub_u32 s2, 0, s46
	s_subb_u32 s3, 0, s47
	v_madmk_f32 v24, v25, 0x4f800000, v24
	v_rcp_f32_e32 v24, v24
	v_mul_f32_e32 v24, 0x5f7ffffc, v24
	v_mul_f32_e32 v25, 0x2f800000, v24
	v_trunc_f32_e32 v25, v25
	v_madmk_f32 v24, v25, 0xcf800000, v24
	v_cvt_u32_f32_e32 v25, v25
	v_cvt_u32_f32_e32 v24, v24
	v_mul_lo_u32 v29, s2, v25
	v_mul_hi_u32 v31, s2, v24
	v_mul_lo_u32 v30, s3, v24
	v_add_u32_e32 v29, v31, v29
	v_mul_lo_u32 v32, s2, v24
	v_add_u32_e32 v29, v29, v30
	v_mul_hi_u32 v31, v24, v32
	v_mul_lo_u32 v33, v24, v29
	v_mul_hi_u32 v30, v24, v29
	v_add_co_u32_e32 v31, vcc, v31, v33
	v_addc_co_u32_e32 v30, vcc, 0, v30, vcc
	v_mul_hi_u32 v34, v25, v32
	v_mul_lo_u32 v32, v25, v32
	v_add_co_u32_e32 v31, vcc, v31, v32
	v_mul_hi_u32 v33, v25, v29
	v_addc_co_u32_e32 v30, vcc, v30, v34, vcc
	v_addc_co_u32_e32 v31, vcc, 0, v33, vcc
	v_mul_lo_u32 v29, v25, v29
	v_add_co_u32_e32 v29, vcc, v30, v29
	v_addc_co_u32_e32 v30, vcc, 0, v31, vcc
	v_add_co_u32_e32 v24, vcc, v24, v29
	v_addc_co_u32_e32 v25, vcc, v25, v30, vcc
	v_mul_lo_u32 v29, s2, v25
	v_mul_hi_u32 v30, s2, v24
	v_add_u32_e32 v29, v30, v29
	v_mul_lo_u32 v30, s3, v24
	v_add_u32_e32 v29, v29, v30
	v_mul_lo_u32 v31, s2, v24
	v_mul_hi_u32 v32, v25, v31
	v_mul_lo_u32 v33, v25, v31
	v_mul_lo_u32 v35, v24, v29
	v_mul_hi_u32 v31, v24, v31
	v_mul_hi_u32 v34, v24, v29
	v_add_co_u32_e32 v31, vcc, v31, v35
	v_addc_co_u32_e32 v34, vcc, 0, v34, vcc
	v_add_co_u32_e32 v31, vcc, v31, v33
	v_mul_hi_u32 v30, v25, v29
	v_addc_co_u32_e32 v31, vcc, v34, v32, vcc
	v_addc_co_u32_e32 v30, vcc, 0, v30, vcc
	v_mul_lo_u32 v29, v25, v29
	v_add_co_u32_e32 v29, vcc, v31, v29
	v_addc_co_u32_e32 v30, vcc, 0, v30, vcc
	v_add_co_u32_e32 v29, vcc, v24, v29
	v_addc_co_u32_e32 v30, vcc, v25, v30, vcc
	v_mad_u64_u32 v[24:25], s[2:3], v26, v30, 0
	v_mul_hi_u32 v31, v26, v29
	v_add_co_u32_e32 v32, vcc, v31, v24
	v_addc_co_u32_e32 v33, vcc, 0, v25, vcc
	v_mad_u64_u32 v[24:25], s[2:3], v27, v30, 0
	v_mad_u64_u32 v[30:31], s[2:3], v27, v29, 0
	v_add_co_u32_e32 v29, vcc, v32, v30
	v_addc_co_u32_e32 v29, vcc, v33, v31, vcc
	v_addc_co_u32_e32 v25, vcc, 0, v25, vcc
	v_add_co_u32_e32 v29, vcc, v29, v24
	v_addc_co_u32_e32 v30, vcc, 0, v25, vcc
	v_mul_lo_u32 v31, s47, v29
	v_mul_lo_u32 v32, s46, v30
	v_mad_u64_u32 v[24:25], s[2:3], s46, v29, 0
	v_add3_u32 v25, v25, v32, v31
	v_sub_u32_e32 v31, v27, v25
	v_mov_b32_e32 v32, s47
	v_sub_co_u32_e32 v24, vcc, v26, v24
	v_subb_co_u32_e64 v26, s[2:3], v31, v32, vcc
	v_subrev_co_u32_e64 v31, s[2:3], s46, v24
	v_subbrev_co_u32_e64 v26, s[2:3], 0, v26, s[2:3]
	v_cmp_le_u32_e64 s[2:3], s47, v26
	v_cndmask_b32_e64 v32, 0, -1, s[2:3]
	v_cmp_le_u32_e64 s[2:3], s46, v31
	v_cndmask_b32_e64 v31, 0, -1, s[2:3]
	v_cmp_eq_u32_e64 s[2:3], s47, v26
	v_cndmask_b32_e64 v26, v32, v31, s[2:3]
	v_add_co_u32_e64 v31, s[2:3], 2, v29
	v_subb_co_u32_e32 v25, vcc, v27, v25, vcc
	v_addc_co_u32_e64 v32, s[2:3], 0, v30, s[2:3]
	v_cmp_le_u32_e32 vcc, s47, v25
	v_add_co_u32_e64 v33, s[2:3], 1, v29
	v_cndmask_b32_e64 v27, 0, -1, vcc
	v_cmp_le_u32_e32 vcc, s46, v24
	v_addc_co_u32_e64 v34, s[2:3], 0, v30, s[2:3]
	v_cndmask_b32_e64 v24, 0, -1, vcc
	v_cmp_eq_u32_e32 vcc, s47, v25
	v_cmp_ne_u32_e64 s[2:3], 0, v26
	v_cndmask_b32_e32 v24, v27, v24, vcc
	v_cndmask_b32_e64 v26, v34, v32, s[2:3]
	v_cmp_ne_u32_e32 vcc, 0, v24
	v_cndmask_b32_e64 v24, v33, v31, s[2:3]
	v_cndmask_b32_e32 v25, v30, v26, vcc
	v_cndmask_b32_e32 v24, v29, v24, vcc
                                        ; implicit-def: $vgpr26
.LBB28_187:
	s_andn2_saveexec_b64 s[2:3], s[8:9]
	s_cbranch_execz .LBB28_189
; %bb.188:
	v_cvt_f32_u32_e32 v24, s46
	s_sub_i32 s8, 0, s46
	v_rcp_iflag_f32_e32 v24, v24
	v_mul_f32_e32 v24, 0x4f7ffffe, v24
	v_cvt_u32_f32_e32 v24, v24
	v_mul_lo_u32 v25, s8, v24
	v_mul_hi_u32 v25, v24, v25
	v_add_u32_e32 v24, v24, v25
	v_mul_hi_u32 v24, v26, v24
	v_mul_lo_u32 v25, v24, s46
	v_sub_u32_e32 v25, v26, v25
	v_add_u32_e32 v27, 1, v24
	v_subrev_u32_e32 v26, s46, v25
	v_cmp_le_u32_e32 vcc, s46, v25
	v_cndmask_b32_e32 v25, v25, v26, vcc
	v_cndmask_b32_e32 v24, v24, v27, vcc
	v_add_u32_e32 v26, 1, v24
	v_cmp_le_u32_e32 vcc, s46, v25
	v_cndmask_b32_e32 v24, v24, v26, vcc
	v_mov_b32_e32 v25, 0
.LBB28_189:
	s_or_b64 exec, exec, s[2:3]
	v_add_co_u32_e32 v29, vcc, 0xc00, v28
	v_addc_co_u32_e32 v30, vcc, 0, v1, vcc
	v_or_b32_e32 v27, s47, v30
	v_mov_b32_e32 v26, 0
	v_cmp_ne_u64_e32 vcc, 0, v[26:27]
                                        ; implicit-def: $vgpr26_vgpr27
	s_and_saveexec_b64 s[2:3], vcc
	s_xor_b64 s[8:9], exec, s[2:3]
	s_cbranch_execz .LBB28_191
; %bb.190:
	v_cvt_f32_u32_e32 v26, s46
	v_cvt_f32_u32_e32 v27, s47
	s_sub_u32 s2, 0, s46
	s_subb_u32 s3, 0, s47
	v_madmk_f32 v26, v27, 0x4f800000, v26
	v_rcp_f32_e32 v26, v26
	v_mul_f32_e32 v26, 0x5f7ffffc, v26
	v_mul_f32_e32 v27, 0x2f800000, v26
	v_trunc_f32_e32 v27, v27
	v_madmk_f32 v26, v27, 0xcf800000, v26
	v_cvt_u32_f32_e32 v27, v27
	v_cvt_u32_f32_e32 v26, v26
	v_mul_lo_u32 v31, s2, v27
	v_mul_hi_u32 v33, s2, v26
	v_mul_lo_u32 v32, s3, v26
	v_add_u32_e32 v31, v33, v31
	v_mul_lo_u32 v34, s2, v26
	v_add_u32_e32 v31, v31, v32
	v_mul_hi_u32 v33, v26, v34
	v_mul_lo_u32 v35, v26, v31
	v_mul_hi_u32 v32, v26, v31
	v_add_co_u32_e32 v33, vcc, v33, v35
	v_addc_co_u32_e32 v32, vcc, 0, v32, vcc
	v_mul_hi_u32 v36, v27, v34
	v_mul_lo_u32 v34, v27, v34
	v_add_co_u32_e32 v33, vcc, v33, v34
	v_mul_hi_u32 v35, v27, v31
	v_addc_co_u32_e32 v32, vcc, v32, v36, vcc
	v_addc_co_u32_e32 v33, vcc, 0, v35, vcc
	v_mul_lo_u32 v31, v27, v31
	v_add_co_u32_e32 v31, vcc, v32, v31
	v_addc_co_u32_e32 v32, vcc, 0, v33, vcc
	v_add_co_u32_e32 v26, vcc, v26, v31
	v_addc_co_u32_e32 v27, vcc, v27, v32, vcc
	v_mul_lo_u32 v31, s2, v27
	v_mul_hi_u32 v32, s2, v26
	v_add_u32_e32 v31, v32, v31
	v_mul_lo_u32 v32, s3, v26
	v_add_u32_e32 v31, v31, v32
	v_mul_lo_u32 v33, s2, v26
	v_mul_hi_u32 v34, v27, v33
	v_mul_lo_u32 v35, v27, v33
	v_mul_lo_u32 v37, v26, v31
	v_mul_hi_u32 v33, v26, v33
	v_mul_hi_u32 v36, v26, v31
	v_add_co_u32_e32 v33, vcc, v33, v37
	v_addc_co_u32_e32 v36, vcc, 0, v36, vcc
	v_add_co_u32_e32 v33, vcc, v33, v35
	v_mul_hi_u32 v32, v27, v31
	v_addc_co_u32_e32 v33, vcc, v36, v34, vcc
	v_addc_co_u32_e32 v32, vcc, 0, v32, vcc
	v_mul_lo_u32 v31, v27, v31
	v_add_co_u32_e32 v31, vcc, v33, v31
	v_addc_co_u32_e32 v32, vcc, 0, v32, vcc
	v_add_co_u32_e32 v31, vcc, v26, v31
	v_addc_co_u32_e32 v32, vcc, v27, v32, vcc
	v_mad_u64_u32 v[26:27], s[2:3], v29, v32, 0
	v_mul_hi_u32 v33, v29, v31
	v_add_co_u32_e32 v34, vcc, v33, v26
	v_addc_co_u32_e32 v35, vcc, 0, v27, vcc
	v_mad_u64_u32 v[26:27], s[2:3], v30, v32, 0
	v_mad_u64_u32 v[32:33], s[2:3], v30, v31, 0
	v_add_co_u32_e32 v31, vcc, v34, v32
	v_addc_co_u32_e32 v31, vcc, v35, v33, vcc
	v_addc_co_u32_e32 v27, vcc, 0, v27, vcc
	v_add_co_u32_e32 v31, vcc, v31, v26
	v_addc_co_u32_e32 v32, vcc, 0, v27, vcc
	v_mul_lo_u32 v33, s47, v31
	v_mul_lo_u32 v34, s46, v32
	v_mad_u64_u32 v[26:27], s[2:3], s46, v31, 0
	v_add3_u32 v27, v27, v34, v33
	v_sub_u32_e32 v33, v30, v27
	v_mov_b32_e32 v34, s47
	v_sub_co_u32_e32 v26, vcc, v29, v26
	v_subb_co_u32_e64 v29, s[2:3], v33, v34, vcc
	v_subrev_co_u32_e64 v33, s[2:3], s46, v26
	v_subbrev_co_u32_e64 v29, s[2:3], 0, v29, s[2:3]
	v_cmp_le_u32_e64 s[2:3], s47, v29
	v_cndmask_b32_e64 v34, 0, -1, s[2:3]
	v_cmp_le_u32_e64 s[2:3], s46, v33
	v_cndmask_b32_e64 v33, 0, -1, s[2:3]
	v_cmp_eq_u32_e64 s[2:3], s47, v29
	v_cndmask_b32_e64 v29, v34, v33, s[2:3]
	v_add_co_u32_e64 v33, s[2:3], 2, v31
	v_subb_co_u32_e32 v27, vcc, v30, v27, vcc
	v_addc_co_u32_e64 v34, s[2:3], 0, v32, s[2:3]
	v_cmp_le_u32_e32 vcc, s47, v27
	v_add_co_u32_e64 v35, s[2:3], 1, v31
	v_cndmask_b32_e64 v30, 0, -1, vcc
	v_cmp_le_u32_e32 vcc, s46, v26
	v_addc_co_u32_e64 v36, s[2:3], 0, v32, s[2:3]
	v_cndmask_b32_e64 v26, 0, -1, vcc
	v_cmp_eq_u32_e32 vcc, s47, v27
	v_cmp_ne_u32_e64 s[2:3], 0, v29
	v_cndmask_b32_e32 v26, v30, v26, vcc
	v_cndmask_b32_e64 v29, v36, v34, s[2:3]
	v_cmp_ne_u32_e32 vcc, 0, v26
	v_cndmask_b32_e64 v26, v35, v33, s[2:3]
	v_cndmask_b32_e32 v27, v32, v29, vcc
	v_cndmask_b32_e32 v26, v31, v26, vcc
                                        ; implicit-def: $vgpr29
.LBB28_191:
	s_andn2_saveexec_b64 s[2:3], s[8:9]
	s_cbranch_execz .LBB28_193
; %bb.192:
	v_cvt_f32_u32_e32 v26, s46
	s_sub_i32 s8, 0, s46
	v_rcp_iflag_f32_e32 v26, v26
	v_mul_f32_e32 v26, 0x4f7ffffe, v26
	v_cvt_u32_f32_e32 v26, v26
	v_mul_lo_u32 v27, s8, v26
	v_mul_hi_u32 v27, v26, v27
	v_add_u32_e32 v26, v26, v27
	v_mul_hi_u32 v26, v29, v26
	v_mul_lo_u32 v27, v26, s46
	v_sub_u32_e32 v27, v29, v27
	v_add_u32_e32 v30, 1, v26
	v_subrev_u32_e32 v29, s46, v27
	v_cmp_le_u32_e32 vcc, s46, v27
	v_cndmask_b32_e32 v27, v27, v29, vcc
	v_cndmask_b32_e32 v26, v26, v30, vcc
	v_add_u32_e32 v29, 1, v26
	v_cmp_le_u32_e32 vcc, s46, v27
	v_cndmask_b32_e32 v26, v26, v29, vcc
	v_mov_b32_e32 v27, 0
.LBB28_193:
	s_or_b64 exec, exec, s[2:3]
	v_add_co_u32_e32 v30, vcc, 0xd00, v28
	v_addc_co_u32_e32 v1, vcc, 0, v1, vcc
	v_or_b32_e32 v29, s47, v1
	v_mov_b32_e32 v28, 0
	v_cmp_ne_u64_e32 vcc, 0, v[28:29]
                                        ; implicit-def: $vgpr28_vgpr29
	s_and_saveexec_b64 s[2:3], vcc
	s_xor_b64 s[8:9], exec, s[2:3]
	s_cbranch_execz .LBB28_195
; %bb.194:
	v_cvt_f32_u32_e32 v28, s46
	v_cvt_f32_u32_e32 v29, s47
	s_sub_u32 s2, 0, s46
	s_subb_u32 s3, 0, s47
	v_madmk_f32 v28, v29, 0x4f800000, v28
	v_rcp_f32_e32 v28, v28
	v_mul_f32_e32 v28, 0x5f7ffffc, v28
	v_mul_f32_e32 v29, 0x2f800000, v28
	v_trunc_f32_e32 v29, v29
	v_madmk_f32 v28, v29, 0xcf800000, v28
	v_cvt_u32_f32_e32 v29, v29
	v_cvt_u32_f32_e32 v28, v28
	v_mul_lo_u32 v31, s2, v29
	v_mul_hi_u32 v33, s2, v28
	v_mul_lo_u32 v32, s3, v28
	v_add_u32_e32 v31, v33, v31
	v_mul_lo_u32 v34, s2, v28
	v_add_u32_e32 v31, v31, v32
	v_mul_hi_u32 v33, v28, v34
	v_mul_lo_u32 v35, v28, v31
	v_mul_hi_u32 v32, v28, v31
	v_add_co_u32_e32 v33, vcc, v33, v35
	v_addc_co_u32_e32 v32, vcc, 0, v32, vcc
	v_mul_hi_u32 v36, v29, v34
	v_mul_lo_u32 v34, v29, v34
	v_add_co_u32_e32 v33, vcc, v33, v34
	v_mul_hi_u32 v35, v29, v31
	v_addc_co_u32_e32 v32, vcc, v32, v36, vcc
	v_addc_co_u32_e32 v33, vcc, 0, v35, vcc
	v_mul_lo_u32 v31, v29, v31
	v_add_co_u32_e32 v31, vcc, v32, v31
	v_addc_co_u32_e32 v32, vcc, 0, v33, vcc
	v_add_co_u32_e32 v28, vcc, v28, v31
	v_addc_co_u32_e32 v29, vcc, v29, v32, vcc
	v_mul_lo_u32 v31, s2, v29
	v_mul_hi_u32 v32, s2, v28
	v_add_u32_e32 v31, v32, v31
	v_mul_lo_u32 v32, s3, v28
	v_add_u32_e32 v31, v31, v32
	v_mul_lo_u32 v33, s2, v28
	v_mul_hi_u32 v34, v29, v33
	v_mul_lo_u32 v35, v29, v33
	v_mul_lo_u32 v37, v28, v31
	v_mul_hi_u32 v33, v28, v33
	v_mul_hi_u32 v36, v28, v31
	v_add_co_u32_e32 v33, vcc, v33, v37
	v_addc_co_u32_e32 v36, vcc, 0, v36, vcc
	v_add_co_u32_e32 v33, vcc, v33, v35
	v_mul_hi_u32 v32, v29, v31
	v_addc_co_u32_e32 v33, vcc, v36, v34, vcc
	v_addc_co_u32_e32 v32, vcc, 0, v32, vcc
	v_mul_lo_u32 v31, v29, v31
	v_add_co_u32_e32 v31, vcc, v33, v31
	v_addc_co_u32_e32 v32, vcc, 0, v32, vcc
	v_add_co_u32_e32 v31, vcc, v28, v31
	v_addc_co_u32_e32 v32, vcc, v29, v32, vcc
	v_mad_u64_u32 v[28:29], s[2:3], v30, v32, 0
	v_mul_hi_u32 v33, v30, v31
	v_add_co_u32_e32 v34, vcc, v33, v28
	v_addc_co_u32_e32 v35, vcc, 0, v29, vcc
	v_mad_u64_u32 v[28:29], s[2:3], v1, v32, 0
	v_mad_u64_u32 v[32:33], s[2:3], v1, v31, 0
	v_add_co_u32_e32 v31, vcc, v34, v32
	v_addc_co_u32_e32 v31, vcc, v35, v33, vcc
	v_addc_co_u32_e32 v29, vcc, 0, v29, vcc
	v_add_co_u32_e32 v31, vcc, v31, v28
	v_addc_co_u32_e32 v32, vcc, 0, v29, vcc
	v_mul_lo_u32 v33, s47, v31
	v_mul_lo_u32 v34, s46, v32
	v_mad_u64_u32 v[28:29], s[2:3], s46, v31, 0
	v_add3_u32 v29, v29, v34, v33
	v_sub_u32_e32 v33, v1, v29
	v_mov_b32_e32 v34, s47
	v_sub_co_u32_e32 v28, vcc, v30, v28
	v_subb_co_u32_e64 v30, s[2:3], v33, v34, vcc
	v_subrev_co_u32_e64 v33, s[2:3], s46, v28
	v_subbrev_co_u32_e64 v30, s[2:3], 0, v30, s[2:3]
	v_cmp_le_u32_e64 s[2:3], s47, v30
	v_cndmask_b32_e64 v34, 0, -1, s[2:3]
	v_cmp_le_u32_e64 s[2:3], s46, v33
	v_cndmask_b32_e64 v33, 0, -1, s[2:3]
	v_cmp_eq_u32_e64 s[2:3], s47, v30
	v_cndmask_b32_e64 v30, v34, v33, s[2:3]
	v_add_co_u32_e64 v33, s[2:3], 2, v31
	v_subb_co_u32_e32 v1, vcc, v1, v29, vcc
	v_addc_co_u32_e64 v34, s[2:3], 0, v32, s[2:3]
	v_cmp_le_u32_e32 vcc, s47, v1
	v_add_co_u32_e64 v35, s[2:3], 1, v31
	v_cndmask_b32_e64 v29, 0, -1, vcc
	v_cmp_le_u32_e32 vcc, s46, v28
	v_addc_co_u32_e64 v36, s[2:3], 0, v32, s[2:3]
	v_cndmask_b32_e64 v28, 0, -1, vcc
	v_cmp_eq_u32_e32 vcc, s47, v1
	v_cmp_ne_u32_e64 s[2:3], 0, v30
	v_cndmask_b32_e32 v1, v29, v28, vcc
	v_cndmask_b32_e64 v30, v36, v34, s[2:3]
	v_cmp_ne_u32_e32 vcc, 0, v1
	v_cndmask_b32_e64 v1, v35, v33, s[2:3]
	v_cndmask_b32_e32 v29, v32, v30, vcc
	v_cndmask_b32_e32 v28, v31, v1, vcc
                                        ; implicit-def: $vgpr30
.LBB28_195:
	s_andn2_saveexec_b64 s[2:3], s[8:9]
	s_cbranch_execz .LBB28_197
; %bb.196:
	v_cvt_f32_u32_e32 v1, s46
	s_sub_i32 s8, 0, s46
	v_rcp_iflag_f32_e32 v1, v1
	v_mul_f32_e32 v1, 0x4f7ffffe, v1
	v_cvt_u32_f32_e32 v1, v1
	v_mul_lo_u32 v28, s8, v1
	v_mul_hi_u32 v28, v1, v28
	v_add_u32_e32 v1, v1, v28
	v_mul_hi_u32 v1, v30, v1
	v_mul_lo_u32 v28, v1, s46
	v_sub_u32_e32 v28, v30, v28
	v_add_u32_e32 v29, 1, v1
	v_subrev_u32_e32 v30, s46, v28
	v_cmp_le_u32_e32 vcc, s46, v28
	v_cndmask_b32_e32 v28, v28, v30, vcc
	v_cndmask_b32_e32 v1, v1, v29, vcc
	v_add_u32_e32 v29, 1, v1
	v_cmp_le_u32_e32 vcc, s46, v28
	v_cndmask_b32_e32 v28, v1, v29, vcc
	v_mov_b32_e32 v29, 0
.LBB28_197:
	s_or_b64 exec, exec, s[2:3]
	v_lshlrev_b32_e32 v1, 3, v0
	s_movk_i32 s2, 0x68
	ds_write2st64_b64 v1, v[2:3], v[4:5] offset1:4
	ds_write2st64_b64 v1, v[6:7], v[8:9] offset0:8 offset1:12
	ds_write2st64_b64 v1, v[10:11], v[12:13] offset0:16 offset1:20
	;; [unrolled: 1-line block ×6, first 2 shown]
	v_mad_u32_u24 v1, v0, s2, v1
	s_waitcnt lgkmcnt(0)
	s_barrier
	ds_read_b128 v[14:17], v1
	ds_read_b128 v[2:5], v1 offset:16
	ds_read_b128 v[30:33], v1 offset:32
	;; [unrolled: 1-line block ×6, first 2 shown]
	s_cmp_eq_u64 s[48:49], 0
	s_cbranch_scc1 .LBB28_213
; %bb.198:
	s_andn2_b64 vcc, exec, s[50:51]
	s_cbranch_vccnz .LBB28_214
; %bb.199:
	s_lshl_b64 s[2:3], s[48:49], 3
	s_add_u32 s2, s42, s2
	s_addc_u32 s3, s43, s3
	s_add_u32 s2, s2, -8
	s_addc_u32 s3, s3, -1
	s_load_dwordx2 s[2:3], s[2:3], 0x0
	s_waitcnt lgkmcnt(0)
	v_pk_mov_b32 v[6:7], s[2:3], s[2:3] op_sel:[0,1]
	s_cbranch_execz .LBB28_215
	s_branch .LBB28_218
.LBB28_200:
	v_lshlrev_b32_e32 v3, 2, v0
	v_mov_b32_e32 v5, s55
	v_add_co_u32_e32 v4, vcc, s7, v3
	v_addc_co_u32_e32 v5, vcc, 0, v5, vcc
	flat_load_dword v3, v[4:5]
	s_or_b64 exec, exec, s[36:37]
                                        ; implicit-def: $vgpr4
	s_and_saveexec_b64 s[2:3], s[34:35]
	s_cbranch_execz .LBB28_101
.LBB28_201:
	v_lshlrev_b32_e32 v4, 2, v0
	v_mov_b32_e32 v5, s55
	v_add_co_u32_e32 v4, vcc, s7, v4
	v_addc_co_u32_e32 v5, vcc, 0, v5, vcc
	flat_load_dword v4, v[4:5] offset:1024
	s_or_b64 exec, exec, s[2:3]
                                        ; implicit-def: $vgpr5
	s_and_saveexec_b64 s[2:3], s[8:9]
	s_cbranch_execz .LBB28_102
.LBB28_202:
	v_lshlrev_b32_e32 v5, 2, v0
	v_mov_b32_e32 v7, s55
	v_add_co_u32_e32 v6, vcc, s7, v5
	v_addc_co_u32_e32 v7, vcc, 0, v7, vcc
	flat_load_dword v5, v[6:7] offset:2048
	s_or_b64 exec, exec, s[2:3]
                                        ; implicit-def: $vgpr6
	s_and_saveexec_b64 s[2:3], s[10:11]
	s_cbranch_execz .LBB28_103
.LBB28_203:
	v_lshlrev_b32_e32 v6, 2, v0
	v_mov_b32_e32 v7, s55
	v_add_co_u32_e32 v6, vcc, s7, v6
	v_addc_co_u32_e32 v7, vcc, 0, v7, vcc
	flat_load_dword v6, v[6:7] offset:3072
	s_or_b64 exec, exec, s[2:3]
                                        ; implicit-def: $vgpr7
	s_and_saveexec_b64 s[2:3], s[12:13]
	s_cbranch_execz .LBB28_104
.LBB28_204:
	v_lshlrev_b32_e32 v1, 2, v1
	v_mov_b32_e32 v7, s55
	v_add_co_u32_e32 v8, vcc, s7, v1
	v_addc_co_u32_e32 v9, vcc, 0, v7, vcc
	flat_load_dword v7, v[8:9]
	s_or_b64 exec, exec, s[2:3]
                                        ; implicit-def: $vgpr8
	s_and_saveexec_b64 s[2:3], s[14:15]
	s_cbranch_execz .LBB28_105
.LBB28_205:
	v_lshlrev_b32_e32 v1, 2, v56
	v_mov_b32_e32 v9, s55
	v_add_co_u32_e32 v8, vcc, s7, v1
	v_addc_co_u32_e32 v9, vcc, 0, v9, vcc
	flat_load_dword v8, v[8:9]
	s_or_b64 exec, exec, s[2:3]
                                        ; implicit-def: $vgpr9
	s_and_saveexec_b64 s[2:3], s[16:17]
	s_cbranch_execz .LBB28_106
.LBB28_206:
	v_lshlrev_b32_e32 v1, 2, v57
	v_mov_b32_e32 v9, s55
	v_add_co_u32_e32 v10, vcc, s7, v1
	v_addc_co_u32_e32 v11, vcc, 0, v9, vcc
	flat_load_dword v9, v[10:11]
	s_or_b64 exec, exec, s[2:3]
                                        ; implicit-def: $vgpr10
	s_and_saveexec_b64 s[2:3], s[18:19]
	s_cbranch_execz .LBB28_107
.LBB28_207:
	v_lshlrev_b32_e32 v1, 2, v58
	v_mov_b32_e32 v11, s55
	v_add_co_u32_e32 v10, vcc, s7, v1
	v_addc_co_u32_e32 v11, vcc, 0, v11, vcc
	flat_load_dword v10, v[10:11]
	s_or_b64 exec, exec, s[2:3]
                                        ; implicit-def: $vgpr11
	s_and_saveexec_b64 s[2:3], s[20:21]
	s_cbranch_execz .LBB28_108
.LBB28_208:
	v_lshlrev_b32_e32 v1, 2, v59
	v_mov_b32_e32 v11, s55
	v_add_co_u32_e32 v12, vcc, s7, v1
	v_addc_co_u32_e32 v13, vcc, 0, v11, vcc
	flat_load_dword v11, v[12:13]
	s_or_b64 exec, exec, s[2:3]
                                        ; implicit-def: $vgpr12
	s_and_saveexec_b64 s[2:3], s[22:23]
	s_cbranch_execz .LBB28_109
.LBB28_209:
	v_lshlrev_b32_e32 v1, 2, v60
	v_mov_b32_e32 v13, s55
	v_add_co_u32_e32 v12, vcc, s7, v1
	v_addc_co_u32_e32 v13, vcc, 0, v13, vcc
	flat_load_dword v12, v[12:13]
	s_or_b64 exec, exec, s[2:3]
                                        ; implicit-def: $vgpr13
	s_and_saveexec_b64 s[2:3], s[24:25]
	s_cbranch_execz .LBB28_110
.LBB28_210:
	v_lshlrev_b32_e32 v1, 2, v61
	v_mov_b32_e32 v13, s55
	v_add_co_u32_e32 v14, vcc, s7, v1
	v_addc_co_u32_e32 v15, vcc, 0, v13, vcc
	flat_load_dword v13, v[14:15]
	s_or_b64 exec, exec, s[2:3]
                                        ; implicit-def: $vgpr14
	s_and_saveexec_b64 s[2:3], s[26:27]
	s_cbranch_execz .LBB28_111
.LBB28_211:
	v_lshlrev_b32_e32 v1, 2, v62
	v_mov_b32_e32 v15, s55
	v_add_co_u32_e32 v14, vcc, s7, v1
	v_addc_co_u32_e32 v15, vcc, 0, v15, vcc
	flat_load_dword v14, v[14:15]
	s_or_b64 exec, exec, s[2:3]
                                        ; implicit-def: $vgpr15
	s_and_saveexec_b64 s[2:3], s[28:29]
	s_cbranch_execz .LBB28_112
.LBB28_212:
	v_lshlrev_b32_e32 v1, 2, v63
	v_mov_b32_e32 v15, s55
	v_add_co_u32_e32 v16, vcc, s7, v1
	v_addc_co_u32_e32 v17, vcc, 0, v15, vcc
	flat_load_dword v15, v[16:17]
	s_or_b64 exec, exec, s[2:3]
                                        ; implicit-def: $vgpr16
	s_and_saveexec_b64 s[2:3], s[30:31]
	s_cbranch_execnz .LBB28_113
	s_branch .LBB28_114
.LBB28_213:
                                        ; implicit-def: $vgpr6_vgpr7
	s_branch .LBB28_219
.LBB28_214:
                                        ; implicit-def: $sgpr2_sgpr3
	v_pk_mov_b32 v[6:7], s[2:3], s[2:3] op_sel:[0,1]
.LBB28_215:
	s_add_u32 s8, s44, -1
	s_addc_u32 s9, s45, -1
	s_or_b64 s[2:3], s[8:9], s[46:47]
	s_mov_b32 s2, 0
	s_cmp_lg_u64 s[2:3], 0
	s_mov_b64 s[10:11], -1
	s_cbranch_scc0 .LBB28_311
; %bb.216:
	v_cvt_f32_u32_e32 v6, s46
	v_cvt_f32_u32_e32 v7, s47
	s_sub_u32 s2, 0, s46
	s_subb_u32 s3, 0, s47
	v_madmk_f32 v6, v7, 0x4f800000, v6
	v_rcp_f32_e32 v6, v6
	v_mul_f32_e32 v6, 0x5f7ffffc, v6
	v_mul_f32_e32 v7, 0x2f800000, v6
	v_trunc_f32_e32 v7, v7
	v_madmk_f32 v6, v7, 0xcf800000, v6
	v_cvt_u32_f32_e32 v7, v7
	v_cvt_u32_f32_e32 v6, v6
	v_readfirstlane_b32 s12, v7
	v_readfirstlane_b32 s13, v6
	s_mul_i32 s14, s2, s12
	s_mul_hi_u32 s16, s2, s13
	s_mul_i32 s15, s3, s13
	s_add_i32 s14, s16, s14
	s_add_i32 s14, s14, s15
	s_mul_i32 s17, s2, s13
	s_mul_hi_u32 s15, s13, s14
	s_mul_i32 s16, s13, s14
	s_mul_hi_u32 s13, s13, s17
	s_add_u32 s13, s13, s16
	s_addc_u32 s15, 0, s15
	s_mul_hi_u32 s18, s12, s17
	s_mul_i32 s17, s12, s17
	s_add_u32 s13, s13, s17
	s_mul_hi_u32 s16, s12, s14
	s_addc_u32 s13, s15, s18
	s_addc_u32 s15, s16, 0
	s_mul_i32 s14, s12, s14
	s_add_u32 s13, s13, s14
	s_addc_u32 s14, 0, s15
	v_add_co_u32_e32 v6, vcc, s13, v6
	s_cmp_lg_u64 vcc, 0
	s_addc_u32 s12, s12, s14
	v_readfirstlane_b32 s14, v6
	s_mul_i32 s13, s2, s12
	s_mul_hi_u32 s15, s2, s14
	s_add_i32 s13, s15, s13
	s_mul_i32 s3, s3, s14
	s_add_i32 s13, s13, s3
	s_mul_i32 s2, s2, s14
	s_mul_hi_u32 s15, s12, s2
	s_mul_i32 s16, s12, s2
	s_mul_i32 s18, s14, s13
	s_mul_hi_u32 s2, s14, s2
	s_mul_hi_u32 s17, s14, s13
	s_add_u32 s2, s2, s18
	s_addc_u32 s14, 0, s17
	s_add_u32 s2, s2, s16
	s_mul_hi_u32 s3, s12, s13
	s_addc_u32 s2, s14, s15
	s_addc_u32 s3, s3, 0
	s_mul_i32 s13, s12, s13
	s_add_u32 s2, s2, s13
	s_addc_u32 s3, 0, s3
	v_add_co_u32_e32 v6, vcc, s2, v6
	s_cmp_lg_u64 vcc, 0
	s_addc_u32 s2, s12, s3
	v_readfirstlane_b32 s13, v6
	s_mul_i32 s12, s8, s2
	s_mul_hi_u32 s14, s8, s13
	s_mul_hi_u32 s3, s8, s2
	s_add_u32 s12, s14, s12
	s_addc_u32 s3, 0, s3
	s_mul_hi_u32 s15, s9, s13
	s_mul_i32 s13, s9, s13
	s_add_u32 s12, s12, s13
	s_mul_hi_u32 s14, s9, s2
	s_addc_u32 s3, s3, s15
	s_addc_u32 s12, s14, 0
	s_mul_i32 s2, s9, s2
	s_add_u32 s13, s3, s2
	s_addc_u32 s12, 0, s12
	s_mul_i32 s2, s46, s12
	s_mul_hi_u32 s3, s46, s13
	s_add_i32 s2, s3, s2
	s_mul_i32 s3, s47, s13
	s_add_i32 s14, s2, s3
	s_mul_i32 s3, s46, s13
	v_mov_b32_e32 v6, s3
	s_sub_i32 s2, s9, s14
	v_sub_co_u32_e32 v6, vcc, s8, v6
	s_cmp_lg_u64 vcc, 0
	s_subb_u32 s15, s2, s47
	v_subrev_co_u32_e64 v7, s[2:3], s46, v6
	s_cmp_lg_u64 s[2:3], 0
	s_subb_u32 s15, s15, 0
	s_cmp_ge_u32 s15, s47
	s_cselect_b32 s16, -1, 0
	v_cmp_le_u32_e64 s[2:3], s46, v7
	s_cmp_eq_u32 s15, s47
	v_cndmask_b32_e64 v7, 0, -1, s[2:3]
	v_mov_b32_e32 v8, s16
	s_cselect_b64 s[2:3], -1, 0
	v_cndmask_b32_e64 v7, v8, v7, s[2:3]
	s_add_u32 s2, s13, 1
	s_addc_u32 s15, s12, 0
	s_add_u32 s3, s13, 2
	s_addc_u32 s16, s12, 0
	v_mov_b32_e32 v8, s2
	v_mov_b32_e32 v9, s3
	v_cmp_ne_u32_e64 s[2:3], 0, v7
	v_cndmask_b32_e64 v8, v8, v9, s[2:3]
	v_mov_b32_e32 v7, s15
	v_mov_b32_e32 v9, s16
	s_cmp_lg_u64 vcc, 0
	v_cndmask_b32_e64 v7, v7, v9, s[2:3]
	s_subb_u32 s2, s9, s14
	s_cmp_ge_u32 s2, s47
	s_cselect_b32 s3, -1, 0
	v_cmp_le_u32_e32 vcc, s46, v6
	s_cmp_eq_u32 s2, s47
	v_cndmask_b32_e64 v6, 0, -1, vcc
	v_mov_b32_e32 v9, s3
	s_cselect_b64 vcc, -1, 0
	v_cndmask_b32_e32 v6, v9, v6, vcc
	v_mov_b32_e32 v9, s12
	v_cmp_ne_u32_e32 vcc, 0, v6
	v_mov_b32_e32 v6, s13
	v_cndmask_b32_e32 v7, v9, v7, vcc
	v_cndmask_b32_e32 v6, v6, v8, vcc
	s_cbranch_execnz .LBB28_218
.LBB28_217:
	v_cvt_f32_u32_e32 v6, s46
	s_sub_i32 s2, 0, s46
	s_mov_b32 s3, 0
	v_rcp_iflag_f32_e32 v6, v6
	v_mul_f32_e32 v6, 0x4f7ffffe, v6
	v_cvt_u32_f32_e32 v6, v6
	v_readfirstlane_b32 s9, v6
	s_mul_i32 s2, s2, s9
	s_mul_hi_u32 s2, s9, s2
	s_add_i32 s9, s9, s2
	s_mul_hi_u32 s2, s8, s9
	s_mul_i32 s10, s2, s46
	s_sub_i32 s8, s8, s10
	s_add_i32 s9, s2, 1
	s_sub_i32 s10, s8, s46
	s_cmp_ge_u32 s8, s46
	s_cselect_b32 s2, s9, s2
	s_cselect_b32 s8, s10, s8
	s_add_i32 s9, s2, 1
	s_cmp_ge_u32 s8, s46
	s_cselect_b32 s2, s9, s2
	v_pk_mov_b32 v[6:7], s[2:3], s[2:3] op_sel:[0,1]
.LBB28_218:
	s_cbranch_execnz .LBB28_222
.LBB28_219:
	s_or_b64 s[2:3], s[44:45], s[46:47]
	s_mov_b32 s2, 0
	s_cmp_lg_u64 s[2:3], 0
	s_cbranch_scc0 .LBB28_309
; %bb.220:
	v_cvt_f32_u32_e32 v6, s46
	v_cvt_f32_u32_e32 v7, s47
	s_sub_u32 s2, 0, s46
	s_subb_u32 s3, 0, s47
	v_madmk_f32 v6, v7, 0x4f800000, v6
	v_rcp_f32_e32 v6, v6
	v_mul_f32_e32 v6, 0x5f7ffffc, v6
	v_mul_f32_e32 v7, 0x2f800000, v6
	v_trunc_f32_e32 v7, v7
	v_madmk_f32 v6, v7, 0xcf800000, v6
	v_cvt_u32_f32_e32 v7, v7
	v_cvt_u32_f32_e32 v6, v6
	v_readfirstlane_b32 s10, v7
	v_readfirstlane_b32 s11, v6
	s_mul_i32 s12, s2, s10
	s_mul_hi_u32 s14, s2, s11
	s_mul_i32 s13, s3, s11
	s_add_i32 s12, s14, s12
	s_add_i32 s12, s12, s13
	s_mul_i32 s15, s2, s11
	s_mul_hi_u32 s13, s11, s12
	s_mul_i32 s14, s11, s12
	s_mul_hi_u32 s11, s11, s15
	s_add_u32 s11, s11, s14
	s_addc_u32 s13, 0, s13
	s_mul_hi_u32 s16, s10, s15
	s_mul_i32 s15, s10, s15
	s_add_u32 s11, s11, s15
	s_mul_hi_u32 s14, s10, s12
	s_addc_u32 s11, s13, s16
	s_addc_u32 s13, s14, 0
	s_mul_i32 s12, s10, s12
	s_add_u32 s11, s11, s12
	s_addc_u32 s12, 0, s13
	v_add_co_u32_e32 v6, vcc, s11, v6
	s_cmp_lg_u64 vcc, 0
	s_addc_u32 s10, s10, s12
	v_readfirstlane_b32 s12, v6
	s_mul_i32 s11, s2, s10
	s_mul_hi_u32 s13, s2, s12
	s_add_i32 s11, s13, s11
	s_mul_i32 s3, s3, s12
	s_add_i32 s11, s11, s3
	s_mul_i32 s2, s2, s12
	s_mul_hi_u32 s13, s10, s2
	s_mul_i32 s14, s10, s2
	s_mul_i32 s16, s12, s11
	s_mul_hi_u32 s2, s12, s2
	s_mul_hi_u32 s15, s12, s11
	s_add_u32 s2, s2, s16
	s_addc_u32 s12, 0, s15
	s_add_u32 s2, s2, s14
	s_mul_hi_u32 s3, s10, s11
	s_addc_u32 s2, s12, s13
	s_addc_u32 s3, s3, 0
	s_mul_i32 s11, s10, s11
	s_add_u32 s2, s2, s11
	s_addc_u32 s3, 0, s3
	v_add_co_u32_e32 v6, vcc, s2, v6
	s_cmp_lg_u64 vcc, 0
	s_addc_u32 s2, s10, s3
	v_readfirstlane_b32 s11, v6
	s_mul_i32 s10, s44, s2
	s_mul_hi_u32 s12, s44, s11
	s_mul_hi_u32 s3, s44, s2
	s_add_u32 s10, s12, s10
	s_addc_u32 s3, 0, s3
	s_mul_hi_u32 s13, s45, s11
	s_mul_i32 s11, s45, s11
	s_add_u32 s10, s10, s11
	s_mul_hi_u32 s12, s45, s2
	s_addc_u32 s3, s3, s13
	s_addc_u32 s10, s12, 0
	s_mul_i32 s2, s45, s2
	s_add_u32 s11, s3, s2
	s_addc_u32 s10, 0, s10
	s_mul_i32 s2, s46, s10
	s_mul_hi_u32 s3, s46, s11
	s_add_i32 s2, s3, s2
	s_mul_i32 s3, s47, s11
	s_add_i32 s12, s2, s3
	s_mul_i32 s3, s46, s11
	v_mov_b32_e32 v6, s3
	s_sub_i32 s2, s45, s12
	v_sub_co_u32_e32 v6, vcc, s44, v6
	s_cmp_lg_u64 vcc, 0
	s_subb_u32 s13, s2, s47
	v_subrev_co_u32_e64 v7, s[2:3], s46, v6
	s_cmp_lg_u64 s[2:3], 0
	s_subb_u32 s13, s13, 0
	s_cmp_ge_u32 s13, s47
	s_cselect_b32 s14, -1, 0
	v_cmp_le_u32_e64 s[2:3], s46, v7
	s_cmp_eq_u32 s13, s47
	v_cndmask_b32_e64 v7, 0, -1, s[2:3]
	v_mov_b32_e32 v8, s14
	s_cselect_b64 s[2:3], -1, 0
	v_cndmask_b32_e64 v7, v8, v7, s[2:3]
	s_add_u32 s2, s11, 1
	s_addc_u32 s13, s10, 0
	s_add_u32 s3, s11, 2
	s_addc_u32 s14, s10, 0
	v_mov_b32_e32 v8, s2
	v_mov_b32_e32 v9, s3
	v_cmp_ne_u32_e64 s[2:3], 0, v7
	v_cndmask_b32_e64 v8, v8, v9, s[2:3]
	v_mov_b32_e32 v7, s13
	v_mov_b32_e32 v9, s14
	s_cmp_lg_u64 vcc, 0
	v_cndmask_b32_e64 v7, v7, v9, s[2:3]
	s_subb_u32 s2, s45, s12
	s_cmp_ge_u32 s2, s47
	s_cselect_b32 s3, -1, 0
	v_cmp_le_u32_e32 vcc, s46, v6
	s_cmp_eq_u32 s2, s47
	v_cndmask_b32_e64 v6, 0, -1, vcc
	v_mov_b32_e32 v9, s3
	s_cselect_b64 vcc, -1, 0
	v_cndmask_b32_e32 v6, v9, v6, vcc
	v_mov_b32_e32 v9, s10
	v_cmp_ne_u32_e32 vcc, 0, v6
	v_mov_b32_e32 v6, s11
	v_cndmask_b32_e32 v7, v9, v7, vcc
	v_cndmask_b32_e32 v6, v6, v8, vcc
	s_cbranch_execnz .LBB28_222
.LBB28_221:
	v_cvt_f32_u32_e32 v6, s46
	s_sub_i32 s2, 0, s46
	s_mov_b32 s3, 0
	v_rcp_iflag_f32_e32 v6, v6
	v_mul_f32_e32 v6, 0x4f7ffffe, v6
	v_cvt_u32_f32_e32 v6, v6
	v_readfirstlane_b32 s8, v6
	s_mul_i32 s2, s2, s8
	s_mul_hi_u32 s2, s8, s2
	s_add_i32 s8, s8, s2
	s_mul_hi_u32 s2, s44, s8
	s_mul_i32 s9, s2, s46
	s_sub_i32 s9, s44, s9
	s_add_i32 s8, s2, 1
	s_sub_i32 s10, s9, s46
	s_cmp_ge_u32 s9, s46
	s_cselect_b32 s2, s8, s2
	s_cselect_b32 s9, s10, s9
	s_add_i32 s8, s2, 1
	s_cmp_ge_u32 s9, s46
	s_cselect_b32 s2, s8, s2
	v_pk_mov_b32 v[6:7], s[2:3], s[2:3] op_sel:[0,1]
.LBB28_222:
	s_movk_i32 s2, 0xff98
	v_mad_i32_i24 v1, v0, s2, v1
	v_cmp_ne_u32_e32 vcc, 0, v0
	s_waitcnt lgkmcnt(0)
	ds_write_b64 v1, v[24:25] offset:28672
	s_waitcnt lgkmcnt(0)
	s_barrier
	s_and_saveexec_b64 s[2:3], vcc
	s_cbranch_execz .LBB28_224
; %bb.223:
	ds_read_b64 v[6:7], v1 offset:28664
.LBB28_224:
	s_or_b64 exec, exec, s[2:3]
	v_lshlrev_b32_e32 v8, 2, v0
	v_mov_b32_e32 v9, s55
	v_add_co_u32_e32 v8, vcc, s7, v8
	v_addc_co_u32_e32 v9, vcc, 0, v9, vcc
	s_movk_i32 s2, 0x1000
	v_add_co_u32_e32 v34, vcc, s2, v8
	v_addc_co_u32_e32 v35, vcc, 0, v9, vcc
	s_movk_i32 s2, 0x2000
	s_waitcnt lgkmcnt(0)
	s_barrier
	flat_load_dword v36, v[8:9]
	flat_load_dword v37, v[8:9] offset:1024
	flat_load_dword v38, v[8:9] offset:2048
	;; [unrolled: 1-line block ×3, first 2 shown]
	flat_load_dword v40, v[34:35]
	flat_load_dword v41, v[34:35] offset:1024
	flat_load_dword v42, v[34:35] offset:2048
	;; [unrolled: 1-line block ×3, first 2 shown]
	v_add_co_u32_e32 v34, vcc, s2, v8
	v_addc_co_u32_e32 v35, vcc, 0, v9, vcc
	s_movk_i32 s2, 0x3000
	v_add_co_u32_e32 v8, vcc, s2, v8
	v_addc_co_u32_e32 v9, vcc, 0, v9, vcc
	flat_load_dword v44, v[34:35]
	flat_load_dword v45, v[34:35] offset:1024
	flat_load_dword v46, v[34:35] offset:2048
	flat_load_dword v47, v[34:35] offset:3072
	flat_load_dword v48, v[8:9]
	flat_load_dword v49, v[8:9] offset:1024
	v_cmp_ne_u64_e32 vcc, v[6:7], v[14:15]
	v_cndmask_b32_e64 v57, 0, 1, vcc
	v_cmp_ne_u64_e32 vcc, v[4:5], v[30:31]
	v_cndmask_b32_e64 v9, 0, 1, vcc
	;; [unrolled: 2-line block ×4, first 2 shown]
	v_cmp_ne_u64_e32 vcc, v[14:15], v[16:17]
	v_lshlrev_b32_e32 v8, 2, v0
	v_cndmask_b32_e64 v3, 0, 1, vcc
	v_cmp_ne_u64_e32 vcc, v[12:13], v[26:27]
	v_cndmask_b32_e64 v17, 0, 1, vcc
	v_cmp_ne_u64_e32 vcc, v[10:11], v[12:13]
	v_sub_u32_e32 v1, v1, v8
	v_cmp_ne_u64_e64 s[2:3], v[22:23], v[24:25]
	v_cndmask_b32_e64 v15, 0, 1, vcc
	v_cmp_ne_u64_e32 vcc, v[32:33], v[10:11]
	v_mad_u32_u24 v24, v0, 52, v1
	v_cndmask_b32_e64 v13, 0, 1, vcc
	v_cmp_ne_u64_e32 vcc, v[30:31], v[32:33]
	v_cndmask_b32_e64 v11, 0, 1, vcc
	v_cmp_ne_u64_e32 vcc, v[20:21], v[22:23]
	;; [unrolled: 2-line block ×5, first 2 shown]
	v_cndmask_b32_e64 v19, 0, 1, vcc
	s_mov_b64 s[20:21], -1
                                        ; implicit-def: $sgpr16_sgpr17
	s_waitcnt vmcnt(0) lgkmcnt(0)
	ds_write2st64_b32 v1, v36, v37 offset1:4
	ds_write2st64_b32 v1, v38, v39 offset0:8 offset1:12
	ds_write2st64_b32 v1, v40, v41 offset0:16 offset1:20
	;; [unrolled: 1-line block ×6, first 2 shown]
	s_waitcnt lgkmcnt(0)
	s_barrier
	ds_read2_b32 v[58:59], v24 offset1:13
	ds_read2_b32 v[30:31], v24 offset0:7 offset1:8
	ds_read2_b32 v[32:33], v24 offset0:5 offset1:6
	ds_read2_b32 v[34:35], v24 offset0:3 offset1:4
	ds_read2_b32 v[36:37], v24 offset0:1 offset1:2
	s_waitcnt lgkmcnt(4)
	v_mov_b32_e32 v56, v58
	s_waitcnt lgkmcnt(3)
	v_mov_b32_e32 v14, v30
	;; [unrolled: 2-line block ×3, first 2 shown]
	v_mov_b32_e32 v12, v33
	v_mov_b32_e32 v16, v31
	ds_read2_b32 v[30:31], v24 offset0:11 offset1:12
	ds_read2_b32 v[32:33], v24 offset0:9 offset1:10
	s_waitcnt lgkmcnt(2)
	v_mov_b32_e32 v2, v36
	v_mov_b32_e32 v4, v37
	;; [unrolled: 1-line block ×4, first 2 shown]
	s_waitcnt lgkmcnt(0)
	v_mov_b32_e32 v18, v32
	v_mov_b32_e32 v20, v33
	;; [unrolled: 1-line block ×4, first 2 shown]
.LBB28_225:
	v_pk_mov_b32 v[38:39], s[16:17], s[16:17] op_sel:[0,1]
	s_and_saveexec_b64 s[8:9], s[20:21]
	s_cbranch_execz .LBB28_227
; %bb.226:
	v_cndmask_b32_e64 v39, 0, 1, s[2:3]
	s_waitcnt lgkmcnt(0)
	v_mov_b32_e32 v38, v59
.LBB28_227:
	s_or_b64 exec, exec, s[8:9]
	s_load_dwordx2 s[36:37], s[4:5], 0x20
	s_mov_b32 s26, 0
	s_cmp_lg_u32 s6, 0
	v_mbcnt_lo_u32_b32 v49, -1, 0
	v_lshrrev_b32_e32 v1, 6, v0
	v_or_b32_e32 v48, 63, v0
	s_waitcnt lgkmcnt(0)
	s_barrier
	s_cbranch_scc0 .LBB28_260
; %bb.228:
	s_mov_b32 s27, 1
	v_cmp_gt_u64_e64 s[2:3], s[26:27], v[2:3]
	v_cndmask_b32_e64 v27, 0, v56, s[2:3]
	v_add_u32_e32 v27, v27, v2
	v_cmp_gt_u64_e64 s[4:5], s[26:27], v[4:5]
	v_cndmask_b32_e64 v27, 0, v27, s[4:5]
	v_add_u32_e32 v27, v27, v4
	;; [unrolled: 3-line block ×13, first 2 shown]
	v_or3_b32 v27, v39, v25, v23
	v_or3_b32 v27, v27, v21, v19
	;; [unrolled: 1-line block ×6, first 2 shown]
	v_mov_b32_e32 v26, 0
	v_and_b32_e32 v27, 1, v27
	v_cmp_eq_u64_e32 vcc, 0, v[26:27]
	v_cndmask_b32_e32 v26, 1, v57, vcc
	v_mbcnt_hi_u32_b32 v44, -1, v49
	v_mov_b32_dpp v29, v28 row_shr:1 row_mask:0xf bank_mask:0xf
	v_mov_b32_dpp v30, v26 row_shr:1 row_mask:0xf bank_mask:0xf
	v_cmp_eq_u32_e32 vcc, 0, v26
	v_and_b32_e32 v31, 1, v26
	v_and_b32_e32 v27, 15, v44
	v_cndmask_b32_e32 v29, 0, v29, vcc
	v_and_b32_e32 v30, 1, v30
	v_cmp_eq_u32_e32 vcc, 1, v31
	v_cndmask_b32_e64 v30, v30, 1, vcc
	v_cmp_eq_u32_e32 vcc, 0, v27
	v_cndmask_b32_e32 v26, v30, v26, vcc
	v_and_b32_e32 v31, 1, v26
	v_cmp_eq_u32_e64 s[28:29], 1, v31
	v_mov_b32_dpp v30, v26 row_shr:2 row_mask:0xf bank_mask:0xf
	v_and_b32_e32 v30, 1, v30
	v_cndmask_b32_e64 v30, v30, 1, s[28:29]
	v_cmp_lt_u32_e64 s[28:29], 1, v27
	v_cndmask_b32_e64 v29, v29, 0, vcc
	v_cmp_eq_u32_e32 vcc, 0, v26
	v_cndmask_b32_e64 v26, v26, v30, s[28:29]
	v_add_u32_e32 v28, v29, v28
	v_and_b32_e32 v31, 1, v26
	v_mov_b32_dpp v30, v26 row_shr:4 row_mask:0xf bank_mask:0xf
	v_mov_b32_dpp v29, v28 row_shr:2 row_mask:0xf bank_mask:0xf
	s_and_b64 vcc, s[28:29], vcc
	v_and_b32_e32 v30, 1, v30
	v_cmp_eq_u32_e64 s[28:29], 1, v31
	v_cndmask_b32_e32 v29, 0, v29, vcc
	v_cndmask_b32_e64 v30, v30, 1, s[28:29]
	v_cmp_lt_u32_e64 s[28:29], 3, v27
	v_add_u32_e32 v28, v29, v28
	v_cmp_eq_u32_e32 vcc, 0, v26
	v_cndmask_b32_e64 v26, v26, v30, s[28:29]
	v_mov_b32_dpp v29, v28 row_shr:4 row_mask:0xf bank_mask:0xf
	s_and_b64 vcc, s[28:29], vcc
	v_mov_b32_dpp v30, v26 row_shr:8 row_mask:0xf bank_mask:0xf
	v_and_b32_e32 v31, 1, v26
	v_cndmask_b32_e32 v29, 0, v29, vcc
	v_and_b32_e32 v30, 1, v30
	v_cmp_eq_u32_e64 s[28:29], 1, v31
	v_add_u32_e32 v28, v29, v28
	v_cmp_eq_u32_e32 vcc, 0, v26
	v_cndmask_b32_e64 v30, v30, 1, s[28:29]
	v_cmp_lt_u32_e64 s[28:29], 7, v27
	v_mov_b32_dpp v29, v28 row_shr:8 row_mask:0xf bank_mask:0xf
	s_and_b64 vcc, s[28:29], vcc
	v_cndmask_b32_e32 v27, 0, v29, vcc
	v_cndmask_b32_e64 v26, v26, v30, s[28:29]
	v_add_u32_e32 v27, v27, v28
	v_cmp_eq_u32_e32 vcc, 0, v26
	v_mov_b32_dpp v29, v26 row_bcast:15 row_mask:0xf bank_mask:0xf
	v_mov_b32_dpp v28, v27 row_bcast:15 row_mask:0xf bank_mask:0xf
	v_and_b32_e32 v32, 1, v26
	v_and_b32_e32 v31, 16, v44
	v_cndmask_b32_e32 v28, 0, v28, vcc
	v_and_b32_e32 v29, 1, v29
	v_cmp_eq_u32_e32 vcc, 1, v32
	v_bfe_i32 v30, v44, 4, 1
	v_cndmask_b32_e64 v29, v29, 1, vcc
	v_cmp_eq_u32_e32 vcc, 0, v31
	v_and_b32_e32 v28, v30, v28
	v_cndmask_b32_e32 v26, v29, v26, vcc
	v_add_u32_e32 v27, v28, v27
	v_and_b32_e32 v30, 1, v26
	v_mov_b32_dpp v28, v26 row_bcast:31 row_mask:0xf bank_mask:0xf
	v_and_b32_e32 v28, 1, v28
	v_cmp_eq_u32_e64 s[28:29], 1, v30
	v_cmp_eq_u32_e32 vcc, 0, v26
	v_cndmask_b32_e64 v28, v28, 1, s[28:29]
	v_cmp_lt_u32_e64 s[28:29], 31, v44
	v_mov_b32_dpp v29, v27 row_bcast:31 row_mask:0xf bank_mask:0xf
	s_and_b64 vcc, s[28:29], vcc
	v_cndmask_b32_e64 v28, v26, v28, s[28:29]
	v_cndmask_b32_e32 v26, 0, v29, vcc
	v_add_u32_e32 v29, v26, v27
	v_cmp_eq_u32_e32 vcc, v48, v0
	s_and_saveexec_b64 s[28:29], vcc
	s_cbranch_execz .LBB28_230
; %bb.229:
	v_lshlrev_b32_e32 v26, 3, v1
	ds_write_b32 v26, v29
	ds_write_b8 v26, v28 offset:4
.LBB28_230:
	s_or_b64 exec, exec, s[28:29]
	v_cmp_gt_u32_e32 vcc, 4, v0
	s_waitcnt lgkmcnt(0)
	s_barrier
	s_and_saveexec_b64 s[28:29], vcc
	s_cbranch_execz .LBB28_234
; %bb.231:
	v_lshlrev_b32_e32 v30, 3, v0
	ds_read_b64 v[26:27], v30
	v_and_b32_e32 v31, 3, v44
	v_cmp_ne_u32_e32 vcc, 0, v31
	s_waitcnt lgkmcnt(0)
	v_mov_b32_dpp v32, v26 row_shr:1 row_mask:0xf bank_mask:0xf
	v_mov_b32_dpp v34, v27 row_shr:1 row_mask:0xf bank_mask:0xf
	v_mov_b32_e32 v33, v27
	s_and_saveexec_b64 s[34:35], vcc
	s_cbranch_execz .LBB28_233
; %bb.232:
	v_and_b32_e32 v33, 1, v27
	v_and_b32_e32 v34, 1, v34
	v_cmp_eq_u32_e32 vcc, 1, v33
	v_mov_b32_e32 v33, 0
	v_cndmask_b32_e64 v34, v34, 1, vcc
	v_cmp_eq_u16_sdwa vcc, v27, v33 src0_sel:BYTE_0 src1_sel:DWORD
	v_cndmask_b32_e32 v32, 0, v32, vcc
	v_add_u32_e32 v26, v32, v26
	v_and_b32_e32 v32, 0xffff, v34
	s_movk_i32 s7, 0xff00
	v_and_or_b32 v33, v27, s7, v32
	v_mov_b32_e32 v27, v34
.LBB28_233:
	s_or_b64 exec, exec, s[34:35]
	v_mov_b32_dpp v33, v33 row_shr:2 row_mask:0xf bank_mask:0xf
	v_and_b32_e32 v34, 1, v27
	v_and_b32_e32 v33, 1, v33
	v_cmp_eq_u32_e32 vcc, 1, v34
	v_mov_b32_e32 v34, 0
	v_cndmask_b32_e64 v33, v33, 1, vcc
	v_cmp_eq_u16_sdwa s[34:35], v27, v34 src0_sel:BYTE_0 src1_sel:DWORD
	v_cmp_lt_u32_e32 vcc, 1, v31
	v_mov_b32_dpp v32, v26 row_shr:2 row_mask:0xf bank_mask:0xf
	v_cndmask_b32_e32 v27, v27, v33, vcc
	s_and_b64 vcc, vcc, s[34:35]
	v_cndmask_b32_e32 v31, 0, v32, vcc
	v_add_u32_e32 v26, v31, v26
	ds_write_b32 v30, v26
	ds_write_b8 v30, v27 offset:4
.LBB28_234:
	s_or_b64 exec, exec, s[28:29]
	v_cmp_gt_u32_e32 vcc, 64, v0
	v_cmp_lt_u32_e64 s[28:29], 63, v0
	v_mov_b32_e32 v40, 0
	v_mov_b32_e32 v41, 0
	s_waitcnt lgkmcnt(0)
	s_barrier
	s_and_saveexec_b64 s[34:35], s[28:29]
	s_cbranch_execz .LBB28_236
; %bb.235:
	v_lshl_add_u32 v26, v1, 3, -8
	ds_read_b32 v40, v26
	ds_read_u8 v41, v26 offset:4
	v_and_b32_e32 v27, 1, v28
	v_cmp_eq_u32_e64 s[28:29], 0, v28
	s_waitcnt lgkmcnt(1)
	v_cndmask_b32_e64 v26, 0, v40, s[28:29]
	v_cmp_eq_u32_e64 s[28:29], 1, v27
	v_add_u32_e32 v29, v26, v29
	s_waitcnt lgkmcnt(0)
	v_cndmask_b32_e64 v28, v41, 1, s[28:29]
.LBB28_236:
	s_or_b64 exec, exec, s[34:35]
	v_add_u32_e32 v26, -1, v44
	v_and_b32_e32 v27, 64, v44
	v_cmp_lt_i32_e64 s[28:29], v26, v27
	v_cndmask_b32_e64 v26, v26, v44, s[28:29]
	v_lshlrev_b32_e32 v26, 2, v26
	ds_bpermute_b32 v42, v26, v29
	ds_bpermute_b32 v43, v26, v28
	v_cmp_eq_u32_e64 s[28:29], 0, v44
	s_and_saveexec_b64 s[42:43], vcc
	s_cbranch_execz .LBB28_259
; %bb.237:
	v_mov_b32_e32 v29, 0
	ds_read_b64 v[26:27], v29 offset:24
	s_waitcnt lgkmcnt(0)
	v_readfirstlane_b32 s7, v27
	s_and_saveexec_b64 s[34:35], s[28:29]
	s_cbranch_execz .LBB28_239
; %bb.238:
	s_add_i32 s44, s6, 64
	s_mov_b32 s45, 0
	s_lshl_b64 s[46:47], s[44:45], 4
	s_add_u32 s46, s52, s46
	s_addc_u32 s47, s53, s47
	s_and_b32 s49, s7, 0xff000000
	s_mov_b32 s48, s45
	s_and_b32 s51, s7, 0xff0000
	s_mov_b32 s50, s45
	s_or_b64 s[48:49], s[50:51], s[48:49]
	s_and_b32 s51, s7, 0xff00
	s_or_b64 s[48:49], s[48:49], s[50:51]
	s_and_b32 s51, s7, 0xff
	s_or_b64 s[44:45], s[48:49], s[50:51]
	v_mov_b32_e32 v27, s45
	v_mov_b32_e32 v28, 1
	v_pk_mov_b32 v[30:31], s[46:47], s[46:47] op_sel:[0,1]
	;;#ASMSTART
	global_store_dwordx4 v[30:31], v[26:29] off	
s_waitcnt vmcnt(0)
	;;#ASMEND
.LBB28_239:
	s_or_b64 exec, exec, s[34:35]
	v_xad_u32 v34, v44, -1, s6
	v_add_u32_e32 v28, 64, v34
	v_lshlrev_b64 v[30:31], 4, v[28:29]
	v_mov_b32_e32 v27, s53
	v_add_co_u32_e32 v36, vcc, s52, v30
	v_addc_co_u32_e32 v37, vcc, v27, v31, vcc
	;;#ASMSTART
	global_load_dwordx4 v[30:33], v[36:37] off glc	
s_waitcnt vmcnt(0)
	;;#ASMEND
	v_and_b32_e32 v27, 0xff0000, v30
	v_or_b32_sdwa v27, v30, v27 dst_sel:DWORD dst_unused:UNUSED_PAD src0_sel:WORD_0 src1_sel:DWORD
	v_and_b32_e32 v28, 0xff000000, v30
	v_and_b32_e32 v30, 0xff, v31
	v_or3_b32 v31, 0, 0, v30
	v_or3_b32 v30, v27, v28, 0
	v_cmp_eq_u16_sdwa s[44:45], v32, v29 src0_sel:BYTE_0 src1_sel:DWORD
	s_and_saveexec_b64 s[34:35], s[44:45]
	s_cbranch_execz .LBB28_245
; %bb.240:
	s_mov_b32 s46, 1
	s_mov_b64 s[44:45], 0
	v_mov_b32_e32 v27, 0
.LBB28_241:                             ; =>This Loop Header: Depth=1
                                        ;     Child Loop BB28_242 Depth 2
	s_max_u32 s47, s46, 1
.LBB28_242:                             ;   Parent Loop BB28_241 Depth=1
                                        ; =>  This Inner Loop Header: Depth=2
	s_add_i32 s47, s47, -1
	s_cmp_eq_u32 s47, 0
	s_sleep 1
	s_cbranch_scc0 .LBB28_242
; %bb.243:                              ;   in Loop: Header=BB28_241 Depth=1
	s_cmp_lt_u32 s46, 32
	s_cselect_b64 s[48:49], -1, 0
	s_cmp_lg_u64 s[48:49], 0
	s_addc_u32 s46, s46, 0
	;;#ASMSTART
	global_load_dwordx4 v[30:33], v[36:37] off glc	
s_waitcnt vmcnt(0)
	;;#ASMEND
	v_cmp_ne_u16_sdwa s[48:49], v32, v27 src0_sel:BYTE_0 src1_sel:DWORD
	s_or_b64 s[44:45], s[48:49], s[44:45]
	s_andn2_b64 exec, exec, s[44:45]
	s_cbranch_execnz .LBB28_241
; %bb.244:
	s_or_b64 exec, exec, s[44:45]
	v_and_b32_e32 v31, 0xff, v31
.LBB28_245:
	s_or_b64 exec, exec, s[34:35]
	v_mov_b32_e32 v27, 2
	v_cmp_eq_u16_sdwa s[34:35], v32, v27 src0_sel:BYTE_0 src1_sel:DWORD
	v_lshlrev_b64 v[28:29], v44, -1
	v_and_b32_e32 v33, s35, v29
	v_or_b32_e32 v33, 0x80000000, v33
	v_and_b32_e32 v35, s34, v28
	v_ffbl_b32_e32 v33, v33
	v_and_b32_e32 v45, 63, v44
	v_add_u32_e32 v33, 32, v33
	v_ffbl_b32_e32 v35, v35
	v_cmp_ne_u32_e32 vcc, 63, v45
	v_min_u32_e32 v33, v35, v33
	v_addc_co_u32_e32 v35, vcc, 0, v44, vcc
	v_lshlrev_b32_e32 v46, 2, v35
	ds_bpermute_b32 v35, v46, v31
	ds_bpermute_b32 v36, v46, v30
	s_mov_b32 s44, 0
	v_and_b32_e32 v37, 1, v31
	s_mov_b32 s45, 1
	s_waitcnt lgkmcnt(1)
	v_and_b32_e32 v35, 1, v35
	v_cmp_eq_u32_e32 vcc, 1, v37
	v_cndmask_b32_e64 v35, v35, 1, vcc
	v_cmp_gt_u64_e32 vcc, s[44:45], v[30:31]
	v_cmp_lt_u32_e64 s[34:35], v45, v33
	s_and_b64 vcc, s[34:35], vcc
	v_and_b32_e32 v37, 0xffff, v35
	v_cndmask_b32_e64 v51, v31, v35, s[34:35]
	s_waitcnt lgkmcnt(0)
	v_cndmask_b32_e32 v35, 0, v36, vcc
	v_cmp_gt_u32_e32 vcc, 62, v45
	v_cndmask_b32_e64 v36, 0, 1, vcc
	v_lshlrev_b32_e32 v36, 1, v36
	v_cndmask_b32_e64 v31, v31, v37, s[34:35]
	v_add_lshl_u32 v47, v36, v44, 2
	ds_bpermute_b32 v36, v47, v31
	v_add_u32_e32 v30, v35, v30
	ds_bpermute_b32 v37, v47, v30
	v_and_b32_e32 v35, 1, v51
	v_cmp_eq_u32_e32 vcc, 1, v35
	s_waitcnt lgkmcnt(1)
	v_and_b32_e32 v36, 1, v36
	v_mov_b32_e32 v35, 0
	v_add_u32_e32 v50, 2, v45
	v_cndmask_b32_e64 v36, v36, 1, vcc
	v_cmp_eq_u16_sdwa vcc, v51, v35 src0_sel:BYTE_0 src1_sel:DWORD
	v_and_b32_e32 v52, 0xffff, v36
	s_waitcnt lgkmcnt(0)
	v_cndmask_b32_e32 v37, 0, v37, vcc
	v_cmp_gt_u32_e32 vcc, v50, v33
	v_cndmask_b32_e32 v36, v36, v51, vcc
	v_cndmask_b32_e64 v37, v37, 0, vcc
	v_cndmask_b32_e32 v31, v52, v31, vcc
	v_cmp_gt_u32_e32 vcc, 60, v45
	v_cndmask_b32_e64 v51, 0, 1, vcc
	v_lshlrev_b32_e32 v51, 2, v51
	v_add_lshl_u32 v51, v51, v44, 2
	ds_bpermute_b32 v53, v51, v31
	v_add_u32_e32 v30, v37, v30
	ds_bpermute_b32 v37, v51, v30
	v_and_b32_e32 v54, 1, v36
	v_cmp_eq_u32_e32 vcc, 1, v54
	s_waitcnt lgkmcnt(1)
	v_and_b32_e32 v53, 1, v53
	v_add_u32_e32 v52, 4, v45
	v_cndmask_b32_e64 v53, v53, 1, vcc
	v_cmp_eq_u16_sdwa vcc, v36, v35 src0_sel:BYTE_0 src1_sel:DWORD
	v_and_b32_e32 v54, 0xffff, v53
	s_waitcnt lgkmcnt(0)
	v_cndmask_b32_e32 v37, 0, v37, vcc
	v_cmp_gt_u32_e32 vcc, v52, v33
	v_cndmask_b32_e32 v36, v53, v36, vcc
	v_cndmask_b32_e64 v37, v37, 0, vcc
	v_cndmask_b32_e32 v31, v54, v31, vcc
	v_cmp_gt_u32_e32 vcc, 56, v45
	v_cndmask_b32_e64 v53, 0, 1, vcc
	v_lshlrev_b32_e32 v53, 3, v53
	v_add_lshl_u32 v53, v53, v44, 2
	ds_bpermute_b32 v55, v53, v31
	v_add_u32_e32 v30, v37, v30
	ds_bpermute_b32 v37, v53, v30
	v_and_b32_e32 v58, 1, v36
	v_cmp_eq_u32_e32 vcc, 1, v58
	s_waitcnt lgkmcnt(1)
	v_and_b32_e32 v55, 1, v55
	;; [unrolled: 21-line block ×4, first 2 shown]
	v_add_u32_e32 v61, 32, v45
	v_cndmask_b32_e64 v31, v31, 1, vcc
	v_cmp_eq_u16_sdwa vcc, v36, v35 src0_sel:BYTE_0 src1_sel:DWORD
	s_waitcnt lgkmcnt(0)
	v_cndmask_b32_e32 v37, 0, v37, vcc
	v_cmp_gt_u32_e32 vcc, v61, v33
	v_cndmask_b32_e64 v33, v37, 0, vcc
	v_cndmask_b32_e32 v31, v31, v36, vcc
	v_add_u32_e32 v30, v33, v30
	s_branch .LBB28_247
.LBB28_246:                             ;   in Loop: Header=BB28_247 Depth=1
	s_or_b64 exec, exec, s[34:35]
	v_cmp_eq_u16_sdwa s[34:35], v32, v27 src0_sel:BYTE_0 src1_sel:DWORD
	v_and_b32_e32 v33, s35, v29
	ds_bpermute_b32 v37, v46, v31
	v_or_b32_e32 v33, 0x80000000, v33
	v_and_b32_e32 v36, s34, v28
	v_ffbl_b32_e32 v33, v33
	v_add_u32_e32 v33, 32, v33
	v_ffbl_b32_e32 v36, v36
	v_min_u32_e32 v33, v36, v33
	ds_bpermute_b32 v36, v46, v30
	v_and_b32_e32 v62, 1, v31
	s_waitcnt lgkmcnt(1)
	v_and_b32_e32 v37, 1, v37
	v_cmp_eq_u32_e32 vcc, 1, v62
	v_cndmask_b32_e64 v37, v37, 1, vcc
	v_cmp_gt_u64_e32 vcc, s[44:45], v[30:31]
	v_and_b32_e32 v62, 0xffff, v37
	v_cmp_lt_u32_e64 s[34:35], v45, v33
	v_cndmask_b32_e64 v37, v31, v37, s[34:35]
	v_cndmask_b32_e64 v31, v31, v62, s[34:35]
	s_and_b64 vcc, s[34:35], vcc
	ds_bpermute_b32 v62, v47, v31
	s_waitcnt lgkmcnt(1)
	v_cndmask_b32_e32 v36, 0, v36, vcc
	v_add_u32_e32 v30, v36, v30
	ds_bpermute_b32 v36, v47, v30
	v_and_b32_e32 v63, 1, v37
	s_waitcnt lgkmcnt(1)
	v_and_b32_e32 v62, 1, v62
	v_cmp_eq_u32_e32 vcc, 1, v63
	v_cndmask_b32_e64 v62, v62, 1, vcc
	v_cmp_eq_u16_sdwa vcc, v37, v35 src0_sel:BYTE_0 src1_sel:DWORD
	v_and_b32_e32 v63, 0xffff, v62
	s_waitcnt lgkmcnt(0)
	v_cndmask_b32_e32 v36, 0, v36, vcc
	v_cmp_gt_u32_e32 vcc, v50, v33
	v_cndmask_b32_e32 v31, v63, v31, vcc
	v_cndmask_b32_e32 v37, v62, v37, vcc
	ds_bpermute_b32 v62, v51, v31
	v_cndmask_b32_e64 v36, v36, 0, vcc
	v_add_u32_e32 v30, v36, v30
	ds_bpermute_b32 v36, v51, v30
	v_and_b32_e32 v63, 1, v37
	s_waitcnt lgkmcnt(1)
	v_and_b32_e32 v62, 1, v62
	v_cmp_eq_u32_e32 vcc, 1, v63
	v_cndmask_b32_e64 v62, v62, 1, vcc
	v_cmp_eq_u16_sdwa vcc, v37, v35 src0_sel:BYTE_0 src1_sel:DWORD
	v_and_b32_e32 v63, 0xffff, v62
	s_waitcnt lgkmcnt(0)
	v_cndmask_b32_e32 v36, 0, v36, vcc
	v_cmp_gt_u32_e32 vcc, v52, v33
	v_cndmask_b32_e32 v31, v63, v31, vcc
	v_cndmask_b32_e32 v37, v62, v37, vcc
	ds_bpermute_b32 v62, v53, v31
	v_cndmask_b32_e64 v36, v36, 0, vcc
	;; [unrolled: 16-line block ×3, first 2 shown]
	v_add_u32_e32 v30, v36, v30
	ds_bpermute_b32 v36, v55, v30
	v_and_b32_e32 v63, 1, v37
	s_waitcnt lgkmcnt(1)
	v_and_b32_e32 v62, 1, v62
	v_cmp_eq_u32_e32 vcc, 1, v63
	v_cndmask_b32_e64 v62, v62, 1, vcc
	v_cmp_eq_u16_sdwa vcc, v37, v35 src0_sel:BYTE_0 src1_sel:DWORD
	v_and_b32_e32 v63, 0xffff, v62
	s_waitcnt lgkmcnt(0)
	v_cndmask_b32_e32 v36, 0, v36, vcc
	v_cmp_gt_u32_e32 vcc, v58, v33
	v_cndmask_b32_e64 v36, v36, 0, vcc
	v_cndmask_b32_e32 v31, v63, v31, vcc
	ds_bpermute_b32 v31, v60, v31
	v_add_u32_e32 v30, v36, v30
	ds_bpermute_b32 v36, v60, v30
	v_cndmask_b32_e32 v37, v62, v37, vcc
	v_and_b32_e32 v62, 1, v37
	v_cmp_eq_u32_e32 vcc, 1, v62
	s_waitcnt lgkmcnt(1)
	v_cndmask_b32_e64 v31, v31, 1, vcc
	v_cmp_eq_u16_sdwa vcc, v37, v35 src0_sel:BYTE_0 src1_sel:DWORD
	s_waitcnt lgkmcnt(0)
	v_cndmask_b32_e32 v36, 0, v36, vcc
	v_cmp_gt_u32_e32 vcc, v61, v33
	v_cndmask_b32_e64 v33, v36, 0, vcc
	v_cndmask_b32_e32 v31, v31, v37, vcc
	v_add_u32_e32 v30, v33, v30
	v_cmp_eq_u16_sdwa vcc, v44, v35 src0_sel:BYTE_0 src1_sel:DWORD
	v_and_b32_e32 v33, 1, v44
	v_cndmask_b32_e32 v30, 0, v30, vcc
	v_and_b32_e32 v31, 1, v31
	v_cmp_eq_u32_e32 vcc, 1, v33
	v_subrev_u32_e32 v34, 64, v34
	v_add_u32_e32 v30, v30, v59
	v_cndmask_b32_e64 v31, v31, 1, vcc
.LBB28_247:                             ; =>This Loop Header: Depth=1
                                        ;     Child Loop BB28_250 Depth 2
                                        ;       Child Loop BB28_251 Depth 3
	v_cmp_ne_u16_sdwa s[34:35], v32, v27 src0_sel:BYTE_0 src1_sel:DWORD
	v_mov_b32_e32 v44, v31
	v_cndmask_b32_e64 v31, 0, 1, s[34:35]
	;;#ASMSTART
	;;#ASMEND
	v_cmp_ne_u32_e32 vcc, 0, v31
	s_cmp_lg_u64 vcc, exec
	v_mov_b32_e32 v59, v30
	s_cbranch_scc1 .LBB28_254
; %bb.248:                              ;   in Loop: Header=BB28_247 Depth=1
	v_lshlrev_b64 v[30:31], 4, v[34:35]
	v_mov_b32_e32 v32, s53
	v_add_co_u32_e32 v36, vcc, s52, v30
	v_addc_co_u32_e32 v37, vcc, v32, v31, vcc
	;;#ASMSTART
	global_load_dwordx4 v[30:33], v[36:37] off glc	
s_waitcnt vmcnt(0)
	;;#ASMEND
	v_and_b32_e32 v33, 0xff0000, v30
	v_or_b32_sdwa v33, v30, v33 dst_sel:DWORD dst_unused:UNUSED_PAD src0_sel:WORD_0 src1_sel:DWORD
	v_and_b32_e32 v30, 0xff000000, v30
	v_and_b32_e32 v31, 0xff, v31
	v_or3_b32 v31, 0, 0, v31
	v_or3_b32 v30, v33, v30, 0
	v_cmp_eq_u16_sdwa s[46:47], v32, v35 src0_sel:BYTE_0 src1_sel:DWORD
	s_and_saveexec_b64 s[34:35], s[46:47]
	s_cbranch_execz .LBB28_246
; %bb.249:                              ;   in Loop: Header=BB28_247 Depth=1
	s_mov_b32 s48, 1
	s_mov_b64 s[46:47], 0
.LBB28_250:                             ;   Parent Loop BB28_247 Depth=1
                                        ; =>  This Loop Header: Depth=2
                                        ;       Child Loop BB28_251 Depth 3
	s_max_u32 s49, s48, 1
.LBB28_251:                             ;   Parent Loop BB28_247 Depth=1
                                        ;     Parent Loop BB28_250 Depth=2
                                        ; =>    This Inner Loop Header: Depth=3
	s_add_i32 s49, s49, -1
	s_cmp_eq_u32 s49, 0
	s_sleep 1
	s_cbranch_scc0 .LBB28_251
; %bb.252:                              ;   in Loop: Header=BB28_250 Depth=2
	s_cmp_lt_u32 s48, 32
	s_cselect_b64 s[50:51], -1, 0
	s_cmp_lg_u64 s[50:51], 0
	s_addc_u32 s48, s48, 0
	;;#ASMSTART
	global_load_dwordx4 v[30:33], v[36:37] off glc	
s_waitcnt vmcnt(0)
	;;#ASMEND
	v_cmp_ne_u16_sdwa s[50:51], v32, v35 src0_sel:BYTE_0 src1_sel:DWORD
	s_or_b64 s[46:47], s[50:51], s[46:47]
	s_andn2_b64 exec, exec, s[46:47]
	s_cbranch_execnz .LBB28_250
; %bb.253:                              ;   in Loop: Header=BB28_247 Depth=1
	s_or_b64 exec, exec, s[46:47]
	v_and_b32_e32 v31, 0xff, v31
	s_branch .LBB28_246
.LBB28_254:                             ;   in Loop: Header=BB28_247 Depth=1
                                        ; implicit-def: $vgpr31
                                        ; implicit-def: $vgpr30
                                        ; implicit-def: $vgpr32
	s_cbranch_execz .LBB28_247
; %bb.255:
	s_and_saveexec_b64 s[34:35], s[28:29]
	s_cbranch_execz .LBB28_257
; %bb.256:
	s_and_b32 s44, s7, 0xff
	s_cmp_eq_u32 s44, 0
	s_cselect_b64 vcc, -1, 0
	s_bitcmp1_b32 s7, 0
	s_mov_b32 s45, 0
	s_cselect_b64 s[46:47], -1, 0
	s_add_i32 s44, s6, 64
	s_lshl_b64 s[6:7], s[44:45], 4
	v_cndmask_b32_e32 v27, 0, v59, vcc
	s_add_u32 s6, s52, s6
	v_add_u32_e32 v26, v27, v26
	v_and_b32_e32 v27, 1, v44
	s_addc_u32 s7, s53, s7
	v_mov_b32_e32 v29, 0
	v_cndmask_b32_e64 v27, v27, 1, s[46:47]
	v_mov_b32_e32 v28, 2
	v_pk_mov_b32 v[30:31], s[6:7], s[6:7] op_sel:[0,1]
	;;#ASMSTART
	global_store_dwordx4 v[30:31], v[26:29] off	
s_waitcnt vmcnt(0)
	;;#ASMEND
.LBB28_257:
	s_or_b64 exec, exec, s[34:35]
	v_cmp_eq_u32_e32 vcc, 0, v0
	s_and_b64 exec, exec, vcc
	s_cbranch_execz .LBB28_259
; %bb.258:
	v_mov_b32_e32 v26, 0
	ds_write_b32 v26, v59 offset:24
	ds_write_b8 v26, v44 offset:28
.LBB28_259:
	s_or_b64 exec, exec, s[42:43]
	s_mov_b32 s6, 0
	v_mov_b32_e32 v28, 0
	s_mov_b32 s7, 1
	s_waitcnt lgkmcnt(0)
	v_cndmask_b32_e64 v26, v43, v41, s[28:29]
	v_cndmask_b32_e64 v27, v42, v40, s[28:29]
	s_barrier
	ds_read_b32 v29, v28 offset:24
	v_cmp_gt_u64_e32 vcc, s[6:7], v[56:57]
	v_and_b32_e32 v30, 1, v57
	v_cndmask_b32_e32 v27, 0, v27, vcc
	v_and_b32_e32 v26, 1, v26
	v_cmp_eq_u32_e32 vcc, 1, v30
	v_cndmask_b32_e64 v26, v26, 1, vcc
	v_cmp_eq_u32_e32 vcc, 0, v0
	v_cndmask_b32_e32 v26, v26, v57, vcc
	v_cndmask_b32_e64 v27, v27, 0, vcc
	v_cmp_eq_u16_sdwa vcc, v26, v28 src0_sel:BYTE_0 src1_sel:DWORD
	s_waitcnt lgkmcnt(0)
	v_cndmask_b32_e32 v26, 0, v29, vcc
	v_add3_u32 v26, v27, v56, v26
	v_cndmask_b32_e64 v27, 0, v26, s[2:3]
	v_add_u32_e32 v27, v27, v2
	v_cndmask_b32_e64 v28, 0, v27, s[4:5]
	v_add_u32_e32 v40, v28, v4
	;; [unrolled: 2-line block ×13, first 2 shown]
	s_branch .LBB28_276
.LBB28_260:
                                        ; implicit-def: $vgpr47
                                        ; implicit-def: $vgpr45
                                        ; implicit-def: $vgpr43
                                        ; implicit-def: $vgpr41
                                        ; implicit-def: $vgpr34_vgpr35_vgpr36_vgpr37
                                        ; implicit-def: $vgpr30_vgpr31_vgpr32_vgpr33
                                        ; implicit-def: $vgpr26_vgpr27_vgpr28_vgpr29
	s_cbranch_execz .LBB28_276
; %bb.261:
	s_cmp_lg_u64 s[58:59], 0
	s_cselect_b32 s5, s39, 0
	s_cselect_b32 s4, s38, 0
	s_cmp_lg_u64 s[4:5], 0
	s_cselect_b64 s[6:7], -1, 0
	v_cmp_eq_u32_e32 vcc, 0, v0
	s_mov_b32 s28, 0
	v_cmp_ne_u32_e64 s[2:3], 0, v0
	s_and_b64 s[8:9], vcc, s[6:7]
	s_and_saveexec_b64 s[6:7], s[8:9]
	s_cbranch_execz .LBB28_263
; %bb.262:
	v_mov_b32_e32 v26, 0
	global_load_dword v28, v26, s[4:5]
	global_load_ubyte v29, v26, s[4:5] offset:4
	s_mov_b32 s29, 1
	v_and_b32_e32 v27, 1, v57
	v_cmp_gt_u64_e64 s[4:5], s[28:29], v[56:57]
	s_waitcnt vmcnt(1)
	v_cndmask_b32_e64 v28, 0, v28, s[4:5]
	s_waitcnt vmcnt(0)
	v_and_b32_e32 v29, 1, v29
	v_cmp_eq_u64_e64 s[4:5], 0, v[26:27]
	v_add_u32_e32 v56, v28, v56
	v_cndmask_b32_e64 v57, 1, v29, s[4:5]
.LBB28_263:
	s_or_b64 exec, exec, s[6:7]
	s_mov_b32 s29, 1
	v_cmp_gt_u64_e64 s[4:5], s[28:29], v[2:3]
	v_cndmask_b32_e64 v26, 0, v56, s[4:5]
	v_add_u32_e32 v27, v26, v2
	v_cmp_gt_u64_e64 s[6:7], s[28:29], v[4:5]
	v_cndmask_b32_e64 v26, 0, v27, s[6:7]
	v_add_u32_e32 v40, v26, v4
	;; [unrolled: 3-line block ×7, first 2 shown]
	v_cmp_gt_u64_e64 s[18:19], s[28:29], v[16:17]
	v_mov_b32_e32 v28, 0
	v_cndmask_b32_e64 v26, 0, v43, s[18:19]
	v_or3_b32 v7, v23, v15, v7
	v_add_u32_e32 v34, v26, v16
	v_cmp_gt_u64_e64 s[20:21], s[28:29], v[18:19]
	v_or3_b32 v9, v25, v17, v9
	v_and_b32_e32 v51, 1, v7
	v_mov_b32_e32 v50, v28
	v_cndmask_b32_e64 v26, 0, v34, s[20:21]
	v_or3_b32 v3, v19, v11, v3
	v_and_b32_e32 v37, 1, v9
	v_mov_b32_e32 v36, v28
	v_cmp_ne_u64_e64 s[34:35], 0, v[50:51]
	v_add_u32_e32 v35, v26, v18
	v_cmp_gt_u64_e64 s[22:23], s[28:29], v[20:21]
	v_or3_b32 v5, v21, v13, v5
	v_and_b32_e32 v29, 1, v3
	v_cndmask_b32_e64 v3, 0, 1, s[34:35]
	v_cmp_ne_u64_e64 s[34:35], 0, v[36:37]
	v_cndmask_b32_e64 v26, 0, v35, s[22:23]
	v_and_b32_e32 v33, 1, v5
	v_mov_b32_e32 v32, v28
	v_cndmask_b32_e64 v5, 0, 1, s[34:35]
	v_add_u32_e32 v44, v26, v20
	v_cmp_gt_u64_e64 s[24:25], s[28:29], v[22:23]
	v_lshlrev_b16_e32 v3, 2, v3
	v_lshlrev_b16_e32 v5, 3, v5
	v_cmp_ne_u64_e64 s[34:35], 0, v[32:33]
	v_cndmask_b32_e64 v26, 0, v44, s[24:25]
	v_or_b32_e32 v3, v5, v3
	v_cndmask_b32_e64 v5, 0, 1, s[34:35]
	v_cmp_ne_u64_e64 s[34:35], 0, v[28:29]
	v_add_u32_e32 v45, v26, v22
	v_cmp_gt_u64_e64 s[26:27], s[28:29], v[24:25]
	v_lshlrev_b16_e32 v5, 1, v5
	v_cndmask_b32_e64 v7, 0, 1, s[34:35]
	v_cndmask_b32_e64 v26, 0, v45, s[26:27]
	v_or_b32_e32 v5, v7, v5
	v_add_u32_e32 v46, v26, v24
	v_cmp_gt_u64_e64 s[28:29], s[28:29], v[38:39]
	v_and_b32_e32 v5, 3, v5
	v_cndmask_b32_e64 v26, 0, v46, s[28:29]
	v_or_b32_e32 v3, v5, v3
	v_add_u32_e32 v47, v26, v38
	v_and_b32_e32 v26, 1, v39
	v_and_b32_e32 v3, 15, v3
	v_cmp_eq_u32_e64 s[30:31], 1, v26
	v_cmp_ne_u16_e64 s[34:35], 0, v3
	s_or_b64 s[30:31], s[30:31], s[34:35]
	v_cndmask_b32_e64 v5, v57, 1, s[30:31]
	v_mbcnt_hi_u32_b32 v3, -1, v49
	v_mov_b32_dpp v9, v47 row_shr:1 row_mask:0xf bank_mask:0xf
	v_mov_b32_dpp v11, v5 row_shr:1 row_mask:0xf bank_mask:0xf
	v_cmp_eq_u32_e64 s[30:31], 0, v5
	v_and_b32_e32 v13, 1, v5
	v_and_b32_e32 v7, 15, v3
	v_cndmask_b32_e64 v9, 0, v9, s[30:31]
	v_and_b32_e32 v11, 1, v11
	v_cmp_eq_u32_e64 s[30:31], 1, v13
	v_cndmask_b32_e64 v11, v11, 1, s[30:31]
	v_cmp_eq_u32_e64 s[30:31], 0, v7
	v_cndmask_b32_e64 v5, v11, v5, s[30:31]
	v_and_b32_e32 v15, 1, v5
	v_cmp_eq_u32_e64 s[34:35], 1, v15
	v_mov_b32_dpp v13, v5 row_shr:2 row_mask:0xf bank_mask:0xf
	v_and_b32_e32 v13, 1, v13
	v_cndmask_b32_e64 v13, v13, 1, s[34:35]
	v_cmp_lt_u32_e64 s[34:35], 1, v7
	v_cndmask_b32_e64 v9, v9, 0, s[30:31]
	v_cmp_eq_u32_e64 s[30:31], 0, v5
	v_cndmask_b32_e64 v5, v5, v13, s[34:35]
	v_add_u32_e32 v9, v47, v9
	v_and_b32_e32 v15, 1, v5
	v_mov_b32_dpp v13, v5 row_shr:4 row_mask:0xf bank_mask:0xf
	v_mov_b32_dpp v11, v9 row_shr:2 row_mask:0xf bank_mask:0xf
	s_and_b64 s[30:31], s[34:35], s[30:31]
	v_and_b32_e32 v13, 1, v13
	v_cmp_eq_u32_e64 s[34:35], 1, v15
	v_cndmask_b32_e64 v11, 0, v11, s[30:31]
	v_cndmask_b32_e64 v13, v13, 1, s[34:35]
	v_cmp_lt_u32_e64 s[34:35], 3, v7
	v_add_u32_e32 v9, v9, v11
	v_cmp_eq_u32_e64 s[30:31], 0, v5
	v_cndmask_b32_e64 v5, v5, v13, s[34:35]
	v_mov_b32_dpp v11, v9 row_shr:4 row_mask:0xf bank_mask:0xf
	s_and_b64 s[30:31], s[34:35], s[30:31]
	v_mov_b32_dpp v13, v5 row_shr:8 row_mask:0xf bank_mask:0xf
	v_and_b32_e32 v15, 1, v5
	v_cndmask_b32_e64 v11, 0, v11, s[30:31]
	v_and_b32_e32 v13, 1, v13
	v_cmp_eq_u32_e64 s[34:35], 1, v15
	v_add_u32_e32 v9, v9, v11
	v_cmp_eq_u32_e64 s[30:31], 0, v5
	v_cndmask_b32_e64 v13, v13, 1, s[34:35]
	v_cmp_lt_u32_e64 s[34:35], 7, v7
	v_mov_b32_dpp v11, v9 row_shr:8 row_mask:0xf bank_mask:0xf
	s_and_b64 s[30:31], s[34:35], s[30:31]
	v_cndmask_b32_e64 v7, 0, v11, s[30:31]
	v_cndmask_b32_e64 v5, v5, v13, s[34:35]
	v_add_u32_e32 v7, v9, v7
	v_cmp_eq_u32_e64 s[30:31], 0, v5
	v_mov_b32_dpp v11, v5 row_bcast:15 row_mask:0xf bank_mask:0xf
	v_mov_b32_dpp v9, v7 row_bcast:15 row_mask:0xf bank_mask:0xf
	v_and_b32_e32 v17, 1, v5
	v_and_b32_e32 v15, 16, v3
	v_cndmask_b32_e64 v9, 0, v9, s[30:31]
	v_and_b32_e32 v11, 1, v11
	v_cmp_eq_u32_e64 s[30:31], 1, v17
	v_bfe_i32 v13, v3, 4, 1
	v_cndmask_b32_e64 v11, v11, 1, s[30:31]
	v_cmp_eq_u32_e64 s[30:31], 0, v15
	v_and_b32_e32 v9, v13, v9
	v_cndmask_b32_e64 v5, v11, v5, s[30:31]
	v_add_u32_e32 v9, v7, v9
	v_and_b32_e32 v13, 1, v5
	v_mov_b32_dpp v7, v5 row_bcast:31 row_mask:0xf bank_mask:0xf
	v_and_b32_e32 v7, 1, v7
	v_cmp_eq_u32_e64 s[34:35], 1, v13
	v_cmp_eq_u32_e64 s[30:31], 0, v5
	v_cndmask_b32_e64 v7, v7, 1, s[34:35]
	v_cmp_lt_u32_e64 s[34:35], 31, v3
	v_mov_b32_dpp v11, v9 row_bcast:31 row_mask:0xf bank_mask:0xf
	s_and_b64 s[30:31], s[34:35], s[30:31]
	v_cndmask_b32_e64 v7, v5, v7, s[34:35]
	v_cndmask_b32_e64 v5, 0, v11, s[30:31]
	v_add_u32_e32 v5, v9, v5
	v_cmp_eq_u32_e64 s[30:31], v48, v0
	s_and_saveexec_b64 s[34:35], s[30:31]
	s_cbranch_execz .LBB28_265
; %bb.264:
	v_lshlrev_b32_e32 v9, 3, v1
	ds_write_b32 v9, v5
	ds_write_b8 v9, v7 offset:4
.LBB28_265:
	s_or_b64 exec, exec, s[34:35]
	v_cmp_gt_u32_e64 s[30:31], 4, v0
	s_waitcnt lgkmcnt(0)
	s_barrier
	s_and_saveexec_b64 s[34:35], s[30:31]
	s_cbranch_execz .LBB28_269
; %bb.266:
	v_lshlrev_b32_e32 v9, 3, v0
	ds_read_b64 v[28:29], v9
	v_and_b32_e32 v11, 3, v3
	v_cmp_ne_u32_e64 s[30:31], 0, v11
	s_waitcnt lgkmcnt(0)
	v_mov_b32_dpp v13, v28 row_shr:1 row_mask:0xf bank_mask:0xf
	v_mov_b32_dpp v17, v29 row_shr:1 row_mask:0xf bank_mask:0xf
	v_mov_b32_e32 v15, v29
	s_and_saveexec_b64 s[38:39], s[30:31]
	s_cbranch_execz .LBB28_268
; %bb.267:
	v_and_b32_e32 v15, 1, v29
	v_and_b32_e32 v17, 1, v17
	v_cmp_eq_u32_e64 s[30:31], 1, v15
	v_mov_b32_e32 v15, 0
	v_cndmask_b32_e64 v17, v17, 1, s[30:31]
	v_cmp_eq_u16_sdwa s[30:31], v29, v15 src0_sel:BYTE_0 src1_sel:DWORD
	v_cndmask_b32_e64 v13, 0, v13, s[30:31]
	v_add_u32_e32 v28, v13, v28
	v_and_b32_e32 v13, 0xffff, v17
	s_movk_i32 s30, 0xff00
	v_and_or_b32 v15, v29, s30, v13
	v_mov_b32_e32 v29, v17
.LBB28_268:
	s_or_b64 exec, exec, s[38:39]
	v_mov_b32_dpp v15, v15 row_shr:2 row_mask:0xf bank_mask:0xf
	v_and_b32_e32 v17, 1, v29
	v_and_b32_e32 v15, 1, v15
	v_cmp_eq_u32_e64 s[30:31], 1, v17
	v_mov_b32_e32 v17, 0
	v_cndmask_b32_e64 v15, v15, 1, s[30:31]
	v_cmp_eq_u16_sdwa s[38:39], v29, v17 src0_sel:BYTE_0 src1_sel:DWORD
	v_cmp_lt_u32_e64 s[30:31], 1, v11
	v_mov_b32_dpp v13, v28 row_shr:2 row_mask:0xf bank_mask:0xf
	v_cndmask_b32_e64 v11, v29, v15, s[30:31]
	s_and_b64 s[30:31], s[30:31], s[38:39]
	v_cndmask_b32_e64 v13, 0, v13, s[30:31]
	v_add_u32_e32 v13, v13, v28
	ds_write_b32 v9, v13
	ds_write_b8 v9, v11 offset:4
.LBB28_269:
	s_or_b64 exec, exec, s[34:35]
	v_cmp_lt_u32_e64 s[30:31], 63, v0
	v_mov_b32_e32 v9, 0
	s_waitcnt lgkmcnt(0)
	s_barrier
	s_and_saveexec_b64 s[34:35], s[30:31]
	s_cbranch_execz .LBB28_271
; %bb.270:
	v_lshl_add_u32 v1, v1, 3, -8
	ds_read_b32 v9, v1
	v_cmp_eq_u32_e64 s[30:31], 0, v7
	s_waitcnt lgkmcnt(0)
	v_cndmask_b32_e64 v1, 0, v9, s[30:31]
	v_add_u32_e32 v5, v1, v5
.LBB28_271:
	s_or_b64 exec, exec, s[34:35]
	v_add_u32_e32 v1, -1, v3
	v_and_b32_e32 v7, 64, v3
	v_cmp_lt_i32_e64 s[30:31], v1, v7
	v_cndmask_b32_e64 v1, v1, v3, s[30:31]
	v_lshlrev_b32_e32 v1, 2, v1
	ds_bpermute_b32 v1, v1, v5
	s_and_saveexec_b64 s[30:31], s[2:3]
	s_cbranch_execz .LBB28_273
; %bb.272:
	v_and_b32_e32 v27, 0xff, v57
	v_mov_b32_e32 v26, 0
	v_cmp_eq_u32_e64 s[2:3], 0, v3
	s_waitcnt lgkmcnt(0)
	v_cndmask_b32_e64 v1, v1, v9, s[2:3]
	v_cmp_eq_u64_e64 s[2:3], 0, v[26:27]
	v_cndmask_b32_e64 v1, 0, v1, s[2:3]
	v_add_u32_e32 v56, v1, v56
	v_cndmask_b32_e64 v1, 0, v56, s[4:5]
	v_add_u32_e32 v27, v1, v2
	;; [unrolled: 2-line block ×14, first 2 shown]
	;;#ASMSTART
	;;#ASMEND
.LBB28_273:
	s_or_b64 exec, exec, s[30:31]
	s_and_saveexec_b64 s[2:3], vcc
	s_cbranch_execz .LBB28_275
; %bb.274:
	v_mov_b32_e32 v5, 0
	ds_read_b32 v2, v5 offset:24
	ds_read_u8 v3, v5 offset:28
	s_add_u32 s4, s52, 0x400
	s_addc_u32 s5, s53, 0
	v_mov_b32_e32 v4, 2
	v_pk_mov_b32 v[6:7], s[4:5], s[4:5] op_sel:[0,1]
	s_waitcnt lgkmcnt(0)
	;;#ASMSTART
	global_store_dwordx4 v[6:7], v[2:5] off	
s_waitcnt vmcnt(0)
	;;#ASMEND
.LBB28_275:
	s_or_b64 exec, exec, s[2:3]
	v_mov_b32_e32 v26, v56
.LBB28_276:
	s_add_u32 s2, s36, s56
	s_addc_u32 s3, s37, s57
	s_add_u32 s4, s2, s40
	s_waitcnt lgkmcnt(0)
	v_mul_u32_u24_e32 v1, 14, v0
	s_addc_u32 s5, s3, s41
	s_and_b64 vcc, exec, s[0:1]
	v_lshlrev_b32_e32 v2, 2, v1
	v_lshlrev_b32_e32 v18, 2, v0
	s_cbranch_vccz .LBB28_304
; %bb.277:
	s_movk_i32 s0, 0xffcc
	v_mad_i32_i24 v3, v0, s0, v2
	s_barrier
	ds_write2_b64 v2, v[26:27], v[40:41] offset1:1
	ds_write2_b64 v2, v[30:31], v[42:43] offset0:2 offset1:3
	ds_write2_b64 v2, v[34:35], v[44:45] offset0:4 offset1:5
	ds_write_b64 v2, v[46:47] offset:48
	s_waitcnt lgkmcnt(0)
	s_barrier
	ds_read2st64_b32 v[16:17], v3 offset0:4 offset1:8
	ds_read2st64_b32 v[14:15], v3 offset0:12 offset1:16
	;; [unrolled: 1-line block ×6, first 2 shown]
	ds_read_b32 v3, v3 offset:13312
	v_mov_b32_e32 v7, s5
	v_add_co_u32_e32 v6, vcc, s4, v18
	s_add_i32 s33, s33, s54
	v_addc_co_u32_e32 v7, vcc, 0, v7, vcc
	v_mov_b32_e32 v1, 0
	v_cmp_gt_u32_e32 vcc, s33, v0
	s_and_saveexec_b64 s[0:1], vcc
	s_cbranch_execz .LBB28_279
; %bb.278:
	v_mul_i32_i24_e32 v19, 0xffffffcc, v0
	v_add_u32_e32 v19, v2, v19
	ds_read_b32 v19, v19
	s_waitcnt lgkmcnt(0)
	flat_store_dword v[6:7], v19
.LBB28_279:
	s_or_b64 exec, exec, s[0:1]
	v_or_b32_e32 v19, 0x100, v0
	v_cmp_gt_u32_e32 vcc, s33, v19
	s_and_saveexec_b64 s[0:1], vcc
	s_cbranch_execz .LBB28_281
; %bb.280:
	s_waitcnt lgkmcnt(0)
	flat_store_dword v[6:7], v16 offset:1024
.LBB28_281:
	s_or_b64 exec, exec, s[0:1]
	s_waitcnt lgkmcnt(0)
	v_or_b32_e32 v16, 0x200, v0
	v_cmp_gt_u32_e32 vcc, s33, v16
	s_and_saveexec_b64 s[0:1], vcc
	s_cbranch_execz .LBB28_283
; %bb.282:
	flat_store_dword v[6:7], v17 offset:2048
.LBB28_283:
	s_or_b64 exec, exec, s[0:1]
	v_or_b32_e32 v16, 0x300, v0
	v_cmp_gt_u32_e32 vcc, s33, v16
	s_and_saveexec_b64 s[0:1], vcc
	s_cbranch_execz .LBB28_285
; %bb.284:
	flat_store_dword v[6:7], v14 offset:3072
.LBB28_285:
	s_or_b64 exec, exec, s[0:1]
	v_or_b32_e32 v14, 0x400, v0
	v_cmp_gt_u32_e32 vcc, s33, v14
	s_and_saveexec_b64 s[0:1], vcc
	s_cbranch_execz .LBB28_287
; %bb.286:
	v_add_co_u32_e32 v16, vcc, 0x1000, v6
	v_addc_co_u32_e32 v17, vcc, 0, v7, vcc
	flat_store_dword v[16:17], v15
.LBB28_287:
	s_or_b64 exec, exec, s[0:1]
	v_or_b32_e32 v14, 0x500, v0
	v_cmp_gt_u32_e32 vcc, s33, v14
	s_and_saveexec_b64 s[0:1], vcc
	s_cbranch_execz .LBB28_289
; %bb.288:
	v_add_co_u32_e32 v14, vcc, 0x1000, v6
	v_addc_co_u32_e32 v15, vcc, 0, v7, vcc
	flat_store_dword v[14:15], v12 offset:1024
.LBB28_289:
	s_or_b64 exec, exec, s[0:1]
	v_or_b32_e32 v12, 0x600, v0
	v_cmp_gt_u32_e32 vcc, s33, v12
	s_and_saveexec_b64 s[0:1], vcc
	s_cbranch_execz .LBB28_291
; %bb.290:
	v_add_co_u32_e32 v14, vcc, 0x1000, v6
	v_addc_co_u32_e32 v15, vcc, 0, v7, vcc
	flat_store_dword v[14:15], v13 offset:2048
.LBB28_291:
	;; [unrolled: 10-line block ×3, first 2 shown]
	s_or_b64 exec, exec, s[0:1]
	v_or_b32_e32 v10, 0x800, v0
	v_cmp_gt_u32_e32 vcc, s33, v10
	s_and_saveexec_b64 s[0:1], vcc
	s_cbranch_execz .LBB28_295
; %bb.294:
	v_add_co_u32_e32 v12, vcc, 0x2000, v6
	v_addc_co_u32_e32 v13, vcc, 0, v7, vcc
	flat_store_dword v[12:13], v11
.LBB28_295:
	s_or_b64 exec, exec, s[0:1]
	v_or_b32_e32 v10, 0x900, v0
	v_cmp_gt_u32_e32 vcc, s33, v10
	s_and_saveexec_b64 s[0:1], vcc
	s_cbranch_execz .LBB28_297
; %bb.296:
	v_add_co_u32_e32 v10, vcc, 0x2000, v6
	v_addc_co_u32_e32 v11, vcc, 0, v7, vcc
	flat_store_dword v[10:11], v8 offset:1024
.LBB28_297:
	s_or_b64 exec, exec, s[0:1]
	v_or_b32_e32 v8, 0xa00, v0
	v_cmp_gt_u32_e32 vcc, s33, v8
	s_and_saveexec_b64 s[0:1], vcc
	s_cbranch_execz .LBB28_299
; %bb.298:
	v_add_co_u32_e32 v10, vcc, 0x2000, v6
	v_addc_co_u32_e32 v11, vcc, 0, v7, vcc
	flat_store_dword v[10:11], v9 offset:2048
.LBB28_299:
	;; [unrolled: 10-line block ×3, first 2 shown]
	s_or_b64 exec, exec, s[0:1]
	v_or_b32_e32 v4, 0xc00, v0
	v_cmp_gt_u32_e32 vcc, s33, v4
	s_and_saveexec_b64 s[0:1], vcc
	s_cbranch_execz .LBB28_303
; %bb.302:
	v_add_co_u32_e32 v6, vcc, 0x3000, v6
	v_addc_co_u32_e32 v7, vcc, 0, v7, vcc
	flat_store_dword v[6:7], v5
.LBB28_303:
	s_or_b64 exec, exec, s[0:1]
	v_or_b32_e32 v4, 0xd00, v0
	v_cmp_gt_u32_e64 s[0:1], s33, v4
	s_branch .LBB28_306
.LBB28_304:
	s_mov_b64 s[0:1], 0
                                        ; implicit-def: $vgpr3
	s_cbranch_execz .LBB28_306
; %bb.305:
	s_movk_i32 s2, 0xffcc
	s_waitcnt lgkmcnt(0)
	s_barrier
	ds_write2_b64 v2, v[26:27], v[40:41] offset1:1
	ds_write2_b64 v2, v[30:31], v[42:43] offset0:2 offset1:3
	ds_write2_b64 v2, v[34:35], v[44:45] offset0:4 offset1:5
	ds_write_b64 v2, v[46:47] offset:48
	v_mad_i32_i24 v2, v0, s2, v2
	v_mov_b32_e32 v17, s5
	v_add_co_u32_e32 v16, vcc, s4, v18
	s_waitcnt lgkmcnt(0)
	s_barrier
	ds_read2st64_b32 v[4:5], v2 offset1:4
	ds_read2st64_b32 v[6:7], v2 offset0:8 offset1:12
	ds_read2st64_b32 v[8:9], v2 offset0:16 offset1:20
	;; [unrolled: 1-line block ×6, first 2 shown]
	v_addc_co_u32_e32 v17, vcc, 0, v17, vcc
	s_movk_i32 s2, 0x1000
	s_waitcnt lgkmcnt(0)
	flat_store_dword v[16:17], v4
	flat_store_dword v[16:17], v5 offset:1024
	flat_store_dword v[16:17], v6 offset:2048
	;; [unrolled: 1-line block ×3, first 2 shown]
	v_add_co_u32_e32 v4, vcc, s2, v16
	v_addc_co_u32_e32 v5, vcc, 0, v17, vcc
	flat_store_dword v[4:5], v8
	flat_store_dword v[4:5], v9 offset:1024
	flat_store_dword v[4:5], v10 offset:2048
	;; [unrolled: 1-line block ×3, first 2 shown]
	v_add_co_u32_e32 v4, vcc, 0x2000, v16
	v_addc_co_u32_e32 v5, vcc, 0, v17, vcc
	flat_store_dword v[4:5], v12
	flat_store_dword v[4:5], v13 offset:1024
	flat_store_dword v[4:5], v14 offset:2048
	flat_store_dword v[4:5], v15 offset:3072
	v_add_co_u32_e32 v4, vcc, 0x3000, v16
	v_mov_b32_e32 v1, 0
	v_addc_co_u32_e32 v5, vcc, 0, v17, vcc
	s_or_b64 s[0:1], s[0:1], exec
	flat_store_dword v[4:5], v2
.LBB28_306:
	s_and_saveexec_b64 s[2:3], s[0:1]
	s_cbranch_execnz .LBB28_308
; %bb.307:
	s_endpgm
.LBB28_308:
	v_lshlrev_b64 v[0:1], 2, v[0:1]
	v_mov_b32_e32 v2, s5
	v_add_co_u32_e32 v0, vcc, s4, v0
	v_addc_co_u32_e32 v1, vcc, v2, v1, vcc
	v_add_co_u32_e32 v0, vcc, 0x3000, v0
	v_addc_co_u32_e32 v1, vcc, 0, v1, vcc
	flat_store_dword v[0:1], v3 offset:1024
	s_endpgm
.LBB28_309:
                                        ; implicit-def: $vgpr6_vgpr7
	s_branch .LBB28_221
.LBB28_310:
                                        ; implicit-def: $vgpr54_vgpr55
	s_andn2_b64 vcc, exec, s[62:63]
	s_cbranch_vccz .LBB28_96
	s_branch .LBB28_97
.LBB28_311:
                                        ; implicit-def: $vgpr6_vgpr7
	s_andn2_b64 vcc, exec, s[10:11]
	s_cbranch_vccz .LBB28_217
	s_branch .LBB28_218
	.section	.rodata,"a",@progbits
	.p2align	6, 0x0
	.amdhsa_kernel _ZN7rocprim17ROCPRIM_400000_NS6detail17trampoline_kernelINS0_14default_configENS1_27scan_by_key_config_selectorImiEEZZNS1_16scan_by_key_implILNS1_25lookback_scan_determinismE0ELb0ES3_N6thrust23THRUST_200600_302600_NS18transform_iteratorI9row_indexNS9_17counting_iteratorImNS9_11use_defaultESD_SD_EESD_SD_EENS9_6detail15normal_iteratorINS9_10device_ptrIiEEEESK_iNS9_4plusIvEENS9_8equal_toIvEEiEE10hipError_tPvRmT2_T3_T4_T5_mT6_T7_P12ihipStream_tbENKUlT_T0_E_clISt17integral_constantIbLb1EES14_IbLb0EEEEDaS10_S11_EUlS10_E_NS1_11comp_targetILNS1_3genE4ELNS1_11target_archE910ELNS1_3gpuE8ELNS1_3repE0EEENS1_30default_config_static_selectorELNS0_4arch9wavefront6targetE1EEEvT1_
		.amdhsa_group_segment_fixed_size 32768
		.amdhsa_private_segment_fixed_size 0
		.amdhsa_kernarg_size 120
		.amdhsa_user_sgpr_count 6
		.amdhsa_user_sgpr_private_segment_buffer 1
		.amdhsa_user_sgpr_dispatch_ptr 0
		.amdhsa_user_sgpr_queue_ptr 0
		.amdhsa_user_sgpr_kernarg_segment_ptr 1
		.amdhsa_user_sgpr_dispatch_id 0
		.amdhsa_user_sgpr_flat_scratch_init 0
		.amdhsa_user_sgpr_kernarg_preload_length 0
		.amdhsa_user_sgpr_kernarg_preload_offset 0
		.amdhsa_user_sgpr_private_segment_size 0
		.amdhsa_uses_dynamic_stack 0
		.amdhsa_system_sgpr_private_segment_wavefront_offset 0
		.amdhsa_system_sgpr_workgroup_id_x 1
		.amdhsa_system_sgpr_workgroup_id_y 0
		.amdhsa_system_sgpr_workgroup_id_z 0
		.amdhsa_system_sgpr_workgroup_info 0
		.amdhsa_system_vgpr_workitem_id 0
		.amdhsa_next_free_vgpr 65
		.amdhsa_next_free_sgpr 72
		.amdhsa_accum_offset 68
		.amdhsa_reserve_vcc 1
		.amdhsa_reserve_flat_scratch 0
		.amdhsa_float_round_mode_32 0
		.amdhsa_float_round_mode_16_64 0
		.amdhsa_float_denorm_mode_32 3
		.amdhsa_float_denorm_mode_16_64 3
		.amdhsa_dx10_clamp 1
		.amdhsa_ieee_mode 1
		.amdhsa_fp16_overflow 0
		.amdhsa_tg_split 0
		.amdhsa_exception_fp_ieee_invalid_op 0
		.amdhsa_exception_fp_denorm_src 0
		.amdhsa_exception_fp_ieee_div_zero 0
		.amdhsa_exception_fp_ieee_overflow 0
		.amdhsa_exception_fp_ieee_underflow 0
		.amdhsa_exception_fp_ieee_inexact 0
		.amdhsa_exception_int_div_zero 0
	.end_amdhsa_kernel
	.section	.text._ZN7rocprim17ROCPRIM_400000_NS6detail17trampoline_kernelINS0_14default_configENS1_27scan_by_key_config_selectorImiEEZZNS1_16scan_by_key_implILNS1_25lookback_scan_determinismE0ELb0ES3_N6thrust23THRUST_200600_302600_NS18transform_iteratorI9row_indexNS9_17counting_iteratorImNS9_11use_defaultESD_SD_EESD_SD_EENS9_6detail15normal_iteratorINS9_10device_ptrIiEEEESK_iNS9_4plusIvEENS9_8equal_toIvEEiEE10hipError_tPvRmT2_T3_T4_T5_mT6_T7_P12ihipStream_tbENKUlT_T0_E_clISt17integral_constantIbLb1EES14_IbLb0EEEEDaS10_S11_EUlS10_E_NS1_11comp_targetILNS1_3genE4ELNS1_11target_archE910ELNS1_3gpuE8ELNS1_3repE0EEENS1_30default_config_static_selectorELNS0_4arch9wavefront6targetE1EEEvT1_,"axG",@progbits,_ZN7rocprim17ROCPRIM_400000_NS6detail17trampoline_kernelINS0_14default_configENS1_27scan_by_key_config_selectorImiEEZZNS1_16scan_by_key_implILNS1_25lookback_scan_determinismE0ELb0ES3_N6thrust23THRUST_200600_302600_NS18transform_iteratorI9row_indexNS9_17counting_iteratorImNS9_11use_defaultESD_SD_EESD_SD_EENS9_6detail15normal_iteratorINS9_10device_ptrIiEEEESK_iNS9_4plusIvEENS9_8equal_toIvEEiEE10hipError_tPvRmT2_T3_T4_T5_mT6_T7_P12ihipStream_tbENKUlT_T0_E_clISt17integral_constantIbLb1EES14_IbLb0EEEEDaS10_S11_EUlS10_E_NS1_11comp_targetILNS1_3genE4ELNS1_11target_archE910ELNS1_3gpuE8ELNS1_3repE0EEENS1_30default_config_static_selectorELNS0_4arch9wavefront6targetE1EEEvT1_,comdat
.Lfunc_end28:
	.size	_ZN7rocprim17ROCPRIM_400000_NS6detail17trampoline_kernelINS0_14default_configENS1_27scan_by_key_config_selectorImiEEZZNS1_16scan_by_key_implILNS1_25lookback_scan_determinismE0ELb0ES3_N6thrust23THRUST_200600_302600_NS18transform_iteratorI9row_indexNS9_17counting_iteratorImNS9_11use_defaultESD_SD_EESD_SD_EENS9_6detail15normal_iteratorINS9_10device_ptrIiEEEESK_iNS9_4plusIvEENS9_8equal_toIvEEiEE10hipError_tPvRmT2_T3_T4_T5_mT6_T7_P12ihipStream_tbENKUlT_T0_E_clISt17integral_constantIbLb1EES14_IbLb0EEEEDaS10_S11_EUlS10_E_NS1_11comp_targetILNS1_3genE4ELNS1_11target_archE910ELNS1_3gpuE8ELNS1_3repE0EEENS1_30default_config_static_selectorELNS0_4arch9wavefront6targetE1EEEvT1_, .Lfunc_end28-_ZN7rocprim17ROCPRIM_400000_NS6detail17trampoline_kernelINS0_14default_configENS1_27scan_by_key_config_selectorImiEEZZNS1_16scan_by_key_implILNS1_25lookback_scan_determinismE0ELb0ES3_N6thrust23THRUST_200600_302600_NS18transform_iteratorI9row_indexNS9_17counting_iteratorImNS9_11use_defaultESD_SD_EESD_SD_EENS9_6detail15normal_iteratorINS9_10device_ptrIiEEEESK_iNS9_4plusIvEENS9_8equal_toIvEEiEE10hipError_tPvRmT2_T3_T4_T5_mT6_T7_P12ihipStream_tbENKUlT_T0_E_clISt17integral_constantIbLb1EES14_IbLb0EEEEDaS10_S11_EUlS10_E_NS1_11comp_targetILNS1_3genE4ELNS1_11target_archE910ELNS1_3gpuE8ELNS1_3repE0EEENS1_30default_config_static_selectorELNS0_4arch9wavefront6targetE1EEEvT1_
                                        ; -- End function
	.section	.AMDGPU.csdata,"",@progbits
; Kernel info:
; codeLenInByte = 34784
; NumSgprs: 76
; NumVgprs: 65
; NumAgprs: 0
; TotalNumVgprs: 65
; ScratchSize: 0
; MemoryBound: 0
; FloatMode: 240
; IeeeMode: 1
; LDSByteSize: 32768 bytes/workgroup (compile time only)
; SGPRBlocks: 9
; VGPRBlocks: 8
; NumSGPRsForWavesPerEU: 76
; NumVGPRsForWavesPerEU: 65
; AccumOffset: 68
; Occupancy: 2
; WaveLimiterHint : 1
; COMPUTE_PGM_RSRC2:SCRATCH_EN: 0
; COMPUTE_PGM_RSRC2:USER_SGPR: 6
; COMPUTE_PGM_RSRC2:TRAP_HANDLER: 0
; COMPUTE_PGM_RSRC2:TGID_X_EN: 1
; COMPUTE_PGM_RSRC2:TGID_Y_EN: 0
; COMPUTE_PGM_RSRC2:TGID_Z_EN: 0
; COMPUTE_PGM_RSRC2:TIDIG_COMP_CNT: 0
; COMPUTE_PGM_RSRC3_GFX90A:ACCUM_OFFSET: 16
; COMPUTE_PGM_RSRC3_GFX90A:TG_SPLIT: 0
	.section	.text._ZN7rocprim17ROCPRIM_400000_NS6detail17trampoline_kernelINS0_14default_configENS1_27scan_by_key_config_selectorImiEEZZNS1_16scan_by_key_implILNS1_25lookback_scan_determinismE0ELb0ES3_N6thrust23THRUST_200600_302600_NS18transform_iteratorI9row_indexNS9_17counting_iteratorImNS9_11use_defaultESD_SD_EESD_SD_EENS9_6detail15normal_iteratorINS9_10device_ptrIiEEEESK_iNS9_4plusIvEENS9_8equal_toIvEEiEE10hipError_tPvRmT2_T3_T4_T5_mT6_T7_P12ihipStream_tbENKUlT_T0_E_clISt17integral_constantIbLb1EES14_IbLb0EEEEDaS10_S11_EUlS10_E_NS1_11comp_targetILNS1_3genE3ELNS1_11target_archE908ELNS1_3gpuE7ELNS1_3repE0EEENS1_30default_config_static_selectorELNS0_4arch9wavefront6targetE1EEEvT1_,"axG",@progbits,_ZN7rocprim17ROCPRIM_400000_NS6detail17trampoline_kernelINS0_14default_configENS1_27scan_by_key_config_selectorImiEEZZNS1_16scan_by_key_implILNS1_25lookback_scan_determinismE0ELb0ES3_N6thrust23THRUST_200600_302600_NS18transform_iteratorI9row_indexNS9_17counting_iteratorImNS9_11use_defaultESD_SD_EESD_SD_EENS9_6detail15normal_iteratorINS9_10device_ptrIiEEEESK_iNS9_4plusIvEENS9_8equal_toIvEEiEE10hipError_tPvRmT2_T3_T4_T5_mT6_T7_P12ihipStream_tbENKUlT_T0_E_clISt17integral_constantIbLb1EES14_IbLb0EEEEDaS10_S11_EUlS10_E_NS1_11comp_targetILNS1_3genE3ELNS1_11target_archE908ELNS1_3gpuE7ELNS1_3repE0EEENS1_30default_config_static_selectorELNS0_4arch9wavefront6targetE1EEEvT1_,comdat
	.protected	_ZN7rocprim17ROCPRIM_400000_NS6detail17trampoline_kernelINS0_14default_configENS1_27scan_by_key_config_selectorImiEEZZNS1_16scan_by_key_implILNS1_25lookback_scan_determinismE0ELb0ES3_N6thrust23THRUST_200600_302600_NS18transform_iteratorI9row_indexNS9_17counting_iteratorImNS9_11use_defaultESD_SD_EESD_SD_EENS9_6detail15normal_iteratorINS9_10device_ptrIiEEEESK_iNS9_4plusIvEENS9_8equal_toIvEEiEE10hipError_tPvRmT2_T3_T4_T5_mT6_T7_P12ihipStream_tbENKUlT_T0_E_clISt17integral_constantIbLb1EES14_IbLb0EEEEDaS10_S11_EUlS10_E_NS1_11comp_targetILNS1_3genE3ELNS1_11target_archE908ELNS1_3gpuE7ELNS1_3repE0EEENS1_30default_config_static_selectorELNS0_4arch9wavefront6targetE1EEEvT1_ ; -- Begin function _ZN7rocprim17ROCPRIM_400000_NS6detail17trampoline_kernelINS0_14default_configENS1_27scan_by_key_config_selectorImiEEZZNS1_16scan_by_key_implILNS1_25lookback_scan_determinismE0ELb0ES3_N6thrust23THRUST_200600_302600_NS18transform_iteratorI9row_indexNS9_17counting_iteratorImNS9_11use_defaultESD_SD_EESD_SD_EENS9_6detail15normal_iteratorINS9_10device_ptrIiEEEESK_iNS9_4plusIvEENS9_8equal_toIvEEiEE10hipError_tPvRmT2_T3_T4_T5_mT6_T7_P12ihipStream_tbENKUlT_T0_E_clISt17integral_constantIbLb1EES14_IbLb0EEEEDaS10_S11_EUlS10_E_NS1_11comp_targetILNS1_3genE3ELNS1_11target_archE908ELNS1_3gpuE7ELNS1_3repE0EEENS1_30default_config_static_selectorELNS0_4arch9wavefront6targetE1EEEvT1_
	.globl	_ZN7rocprim17ROCPRIM_400000_NS6detail17trampoline_kernelINS0_14default_configENS1_27scan_by_key_config_selectorImiEEZZNS1_16scan_by_key_implILNS1_25lookback_scan_determinismE0ELb0ES3_N6thrust23THRUST_200600_302600_NS18transform_iteratorI9row_indexNS9_17counting_iteratorImNS9_11use_defaultESD_SD_EESD_SD_EENS9_6detail15normal_iteratorINS9_10device_ptrIiEEEESK_iNS9_4plusIvEENS9_8equal_toIvEEiEE10hipError_tPvRmT2_T3_T4_T5_mT6_T7_P12ihipStream_tbENKUlT_T0_E_clISt17integral_constantIbLb1EES14_IbLb0EEEEDaS10_S11_EUlS10_E_NS1_11comp_targetILNS1_3genE3ELNS1_11target_archE908ELNS1_3gpuE7ELNS1_3repE0EEENS1_30default_config_static_selectorELNS0_4arch9wavefront6targetE1EEEvT1_
	.p2align	8
	.type	_ZN7rocprim17ROCPRIM_400000_NS6detail17trampoline_kernelINS0_14default_configENS1_27scan_by_key_config_selectorImiEEZZNS1_16scan_by_key_implILNS1_25lookback_scan_determinismE0ELb0ES3_N6thrust23THRUST_200600_302600_NS18transform_iteratorI9row_indexNS9_17counting_iteratorImNS9_11use_defaultESD_SD_EESD_SD_EENS9_6detail15normal_iteratorINS9_10device_ptrIiEEEESK_iNS9_4plusIvEENS9_8equal_toIvEEiEE10hipError_tPvRmT2_T3_T4_T5_mT6_T7_P12ihipStream_tbENKUlT_T0_E_clISt17integral_constantIbLb1EES14_IbLb0EEEEDaS10_S11_EUlS10_E_NS1_11comp_targetILNS1_3genE3ELNS1_11target_archE908ELNS1_3gpuE7ELNS1_3repE0EEENS1_30default_config_static_selectorELNS0_4arch9wavefront6targetE1EEEvT1_,@function
_ZN7rocprim17ROCPRIM_400000_NS6detail17trampoline_kernelINS0_14default_configENS1_27scan_by_key_config_selectorImiEEZZNS1_16scan_by_key_implILNS1_25lookback_scan_determinismE0ELb0ES3_N6thrust23THRUST_200600_302600_NS18transform_iteratorI9row_indexNS9_17counting_iteratorImNS9_11use_defaultESD_SD_EESD_SD_EENS9_6detail15normal_iteratorINS9_10device_ptrIiEEEESK_iNS9_4plusIvEENS9_8equal_toIvEEiEE10hipError_tPvRmT2_T3_T4_T5_mT6_T7_P12ihipStream_tbENKUlT_T0_E_clISt17integral_constantIbLb1EES14_IbLb0EEEEDaS10_S11_EUlS10_E_NS1_11comp_targetILNS1_3genE3ELNS1_11target_archE908ELNS1_3gpuE7ELNS1_3repE0EEENS1_30default_config_static_selectorELNS0_4arch9wavefront6targetE1EEEvT1_: ; @_ZN7rocprim17ROCPRIM_400000_NS6detail17trampoline_kernelINS0_14default_configENS1_27scan_by_key_config_selectorImiEEZZNS1_16scan_by_key_implILNS1_25lookback_scan_determinismE0ELb0ES3_N6thrust23THRUST_200600_302600_NS18transform_iteratorI9row_indexNS9_17counting_iteratorImNS9_11use_defaultESD_SD_EESD_SD_EENS9_6detail15normal_iteratorINS9_10device_ptrIiEEEESK_iNS9_4plusIvEENS9_8equal_toIvEEiEE10hipError_tPvRmT2_T3_T4_T5_mT6_T7_P12ihipStream_tbENKUlT_T0_E_clISt17integral_constantIbLb1EES14_IbLb0EEEEDaS10_S11_EUlS10_E_NS1_11comp_targetILNS1_3genE3ELNS1_11target_archE908ELNS1_3gpuE7ELNS1_3repE0EEENS1_30default_config_static_selectorELNS0_4arch9wavefront6targetE1EEEvT1_
; %bb.0:
	.section	.rodata,"a",@progbits
	.p2align	6, 0x0
	.amdhsa_kernel _ZN7rocprim17ROCPRIM_400000_NS6detail17trampoline_kernelINS0_14default_configENS1_27scan_by_key_config_selectorImiEEZZNS1_16scan_by_key_implILNS1_25lookback_scan_determinismE0ELb0ES3_N6thrust23THRUST_200600_302600_NS18transform_iteratorI9row_indexNS9_17counting_iteratorImNS9_11use_defaultESD_SD_EESD_SD_EENS9_6detail15normal_iteratorINS9_10device_ptrIiEEEESK_iNS9_4plusIvEENS9_8equal_toIvEEiEE10hipError_tPvRmT2_T3_T4_T5_mT6_T7_P12ihipStream_tbENKUlT_T0_E_clISt17integral_constantIbLb1EES14_IbLb0EEEEDaS10_S11_EUlS10_E_NS1_11comp_targetILNS1_3genE3ELNS1_11target_archE908ELNS1_3gpuE7ELNS1_3repE0EEENS1_30default_config_static_selectorELNS0_4arch9wavefront6targetE1EEEvT1_
		.amdhsa_group_segment_fixed_size 0
		.amdhsa_private_segment_fixed_size 0
		.amdhsa_kernarg_size 120
		.amdhsa_user_sgpr_count 6
		.amdhsa_user_sgpr_private_segment_buffer 1
		.amdhsa_user_sgpr_dispatch_ptr 0
		.amdhsa_user_sgpr_queue_ptr 0
		.amdhsa_user_sgpr_kernarg_segment_ptr 1
		.amdhsa_user_sgpr_dispatch_id 0
		.amdhsa_user_sgpr_flat_scratch_init 0
		.amdhsa_user_sgpr_kernarg_preload_length 0
		.amdhsa_user_sgpr_kernarg_preload_offset 0
		.amdhsa_user_sgpr_private_segment_size 0
		.amdhsa_uses_dynamic_stack 0
		.amdhsa_system_sgpr_private_segment_wavefront_offset 0
		.amdhsa_system_sgpr_workgroup_id_x 1
		.amdhsa_system_sgpr_workgroup_id_y 0
		.amdhsa_system_sgpr_workgroup_id_z 0
		.amdhsa_system_sgpr_workgroup_info 0
		.amdhsa_system_vgpr_workitem_id 0
		.amdhsa_next_free_vgpr 1
		.amdhsa_next_free_sgpr 0
		.amdhsa_accum_offset 4
		.amdhsa_reserve_vcc 0
		.amdhsa_reserve_flat_scratch 0
		.amdhsa_float_round_mode_32 0
		.amdhsa_float_round_mode_16_64 0
		.amdhsa_float_denorm_mode_32 3
		.amdhsa_float_denorm_mode_16_64 3
		.amdhsa_dx10_clamp 1
		.amdhsa_ieee_mode 1
		.amdhsa_fp16_overflow 0
		.amdhsa_tg_split 0
		.amdhsa_exception_fp_ieee_invalid_op 0
		.amdhsa_exception_fp_denorm_src 0
		.amdhsa_exception_fp_ieee_div_zero 0
		.amdhsa_exception_fp_ieee_overflow 0
		.amdhsa_exception_fp_ieee_underflow 0
		.amdhsa_exception_fp_ieee_inexact 0
		.amdhsa_exception_int_div_zero 0
	.end_amdhsa_kernel
	.section	.text._ZN7rocprim17ROCPRIM_400000_NS6detail17trampoline_kernelINS0_14default_configENS1_27scan_by_key_config_selectorImiEEZZNS1_16scan_by_key_implILNS1_25lookback_scan_determinismE0ELb0ES3_N6thrust23THRUST_200600_302600_NS18transform_iteratorI9row_indexNS9_17counting_iteratorImNS9_11use_defaultESD_SD_EESD_SD_EENS9_6detail15normal_iteratorINS9_10device_ptrIiEEEESK_iNS9_4plusIvEENS9_8equal_toIvEEiEE10hipError_tPvRmT2_T3_T4_T5_mT6_T7_P12ihipStream_tbENKUlT_T0_E_clISt17integral_constantIbLb1EES14_IbLb0EEEEDaS10_S11_EUlS10_E_NS1_11comp_targetILNS1_3genE3ELNS1_11target_archE908ELNS1_3gpuE7ELNS1_3repE0EEENS1_30default_config_static_selectorELNS0_4arch9wavefront6targetE1EEEvT1_,"axG",@progbits,_ZN7rocprim17ROCPRIM_400000_NS6detail17trampoline_kernelINS0_14default_configENS1_27scan_by_key_config_selectorImiEEZZNS1_16scan_by_key_implILNS1_25lookback_scan_determinismE0ELb0ES3_N6thrust23THRUST_200600_302600_NS18transform_iteratorI9row_indexNS9_17counting_iteratorImNS9_11use_defaultESD_SD_EESD_SD_EENS9_6detail15normal_iteratorINS9_10device_ptrIiEEEESK_iNS9_4plusIvEENS9_8equal_toIvEEiEE10hipError_tPvRmT2_T3_T4_T5_mT6_T7_P12ihipStream_tbENKUlT_T0_E_clISt17integral_constantIbLb1EES14_IbLb0EEEEDaS10_S11_EUlS10_E_NS1_11comp_targetILNS1_3genE3ELNS1_11target_archE908ELNS1_3gpuE7ELNS1_3repE0EEENS1_30default_config_static_selectorELNS0_4arch9wavefront6targetE1EEEvT1_,comdat
.Lfunc_end29:
	.size	_ZN7rocprim17ROCPRIM_400000_NS6detail17trampoline_kernelINS0_14default_configENS1_27scan_by_key_config_selectorImiEEZZNS1_16scan_by_key_implILNS1_25lookback_scan_determinismE0ELb0ES3_N6thrust23THRUST_200600_302600_NS18transform_iteratorI9row_indexNS9_17counting_iteratorImNS9_11use_defaultESD_SD_EESD_SD_EENS9_6detail15normal_iteratorINS9_10device_ptrIiEEEESK_iNS9_4plusIvEENS9_8equal_toIvEEiEE10hipError_tPvRmT2_T3_T4_T5_mT6_T7_P12ihipStream_tbENKUlT_T0_E_clISt17integral_constantIbLb1EES14_IbLb0EEEEDaS10_S11_EUlS10_E_NS1_11comp_targetILNS1_3genE3ELNS1_11target_archE908ELNS1_3gpuE7ELNS1_3repE0EEENS1_30default_config_static_selectorELNS0_4arch9wavefront6targetE1EEEvT1_, .Lfunc_end29-_ZN7rocprim17ROCPRIM_400000_NS6detail17trampoline_kernelINS0_14default_configENS1_27scan_by_key_config_selectorImiEEZZNS1_16scan_by_key_implILNS1_25lookback_scan_determinismE0ELb0ES3_N6thrust23THRUST_200600_302600_NS18transform_iteratorI9row_indexNS9_17counting_iteratorImNS9_11use_defaultESD_SD_EESD_SD_EENS9_6detail15normal_iteratorINS9_10device_ptrIiEEEESK_iNS9_4plusIvEENS9_8equal_toIvEEiEE10hipError_tPvRmT2_T3_T4_T5_mT6_T7_P12ihipStream_tbENKUlT_T0_E_clISt17integral_constantIbLb1EES14_IbLb0EEEEDaS10_S11_EUlS10_E_NS1_11comp_targetILNS1_3genE3ELNS1_11target_archE908ELNS1_3gpuE7ELNS1_3repE0EEENS1_30default_config_static_selectorELNS0_4arch9wavefront6targetE1EEEvT1_
                                        ; -- End function
	.section	.AMDGPU.csdata,"",@progbits
; Kernel info:
; codeLenInByte = 0
; NumSgprs: 4
; NumVgprs: 0
; NumAgprs: 0
; TotalNumVgprs: 0
; ScratchSize: 0
; MemoryBound: 0
; FloatMode: 240
; IeeeMode: 1
; LDSByteSize: 0 bytes/workgroup (compile time only)
; SGPRBlocks: 0
; VGPRBlocks: 0
; NumSGPRsForWavesPerEU: 4
; NumVGPRsForWavesPerEU: 1
; AccumOffset: 4
; Occupancy: 8
; WaveLimiterHint : 0
; COMPUTE_PGM_RSRC2:SCRATCH_EN: 0
; COMPUTE_PGM_RSRC2:USER_SGPR: 6
; COMPUTE_PGM_RSRC2:TRAP_HANDLER: 0
; COMPUTE_PGM_RSRC2:TGID_X_EN: 1
; COMPUTE_PGM_RSRC2:TGID_Y_EN: 0
; COMPUTE_PGM_RSRC2:TGID_Z_EN: 0
; COMPUTE_PGM_RSRC2:TIDIG_COMP_CNT: 0
; COMPUTE_PGM_RSRC3_GFX90A:ACCUM_OFFSET: 0
; COMPUTE_PGM_RSRC3_GFX90A:TG_SPLIT: 0
	.section	.text._ZN7rocprim17ROCPRIM_400000_NS6detail17trampoline_kernelINS0_14default_configENS1_27scan_by_key_config_selectorImiEEZZNS1_16scan_by_key_implILNS1_25lookback_scan_determinismE0ELb0ES3_N6thrust23THRUST_200600_302600_NS18transform_iteratorI9row_indexNS9_17counting_iteratorImNS9_11use_defaultESD_SD_EESD_SD_EENS9_6detail15normal_iteratorINS9_10device_ptrIiEEEESK_iNS9_4plusIvEENS9_8equal_toIvEEiEE10hipError_tPvRmT2_T3_T4_T5_mT6_T7_P12ihipStream_tbENKUlT_T0_E_clISt17integral_constantIbLb1EES14_IbLb0EEEEDaS10_S11_EUlS10_E_NS1_11comp_targetILNS1_3genE2ELNS1_11target_archE906ELNS1_3gpuE6ELNS1_3repE0EEENS1_30default_config_static_selectorELNS0_4arch9wavefront6targetE1EEEvT1_,"axG",@progbits,_ZN7rocprim17ROCPRIM_400000_NS6detail17trampoline_kernelINS0_14default_configENS1_27scan_by_key_config_selectorImiEEZZNS1_16scan_by_key_implILNS1_25lookback_scan_determinismE0ELb0ES3_N6thrust23THRUST_200600_302600_NS18transform_iteratorI9row_indexNS9_17counting_iteratorImNS9_11use_defaultESD_SD_EESD_SD_EENS9_6detail15normal_iteratorINS9_10device_ptrIiEEEESK_iNS9_4plusIvEENS9_8equal_toIvEEiEE10hipError_tPvRmT2_T3_T4_T5_mT6_T7_P12ihipStream_tbENKUlT_T0_E_clISt17integral_constantIbLb1EES14_IbLb0EEEEDaS10_S11_EUlS10_E_NS1_11comp_targetILNS1_3genE2ELNS1_11target_archE906ELNS1_3gpuE6ELNS1_3repE0EEENS1_30default_config_static_selectorELNS0_4arch9wavefront6targetE1EEEvT1_,comdat
	.protected	_ZN7rocprim17ROCPRIM_400000_NS6detail17trampoline_kernelINS0_14default_configENS1_27scan_by_key_config_selectorImiEEZZNS1_16scan_by_key_implILNS1_25lookback_scan_determinismE0ELb0ES3_N6thrust23THRUST_200600_302600_NS18transform_iteratorI9row_indexNS9_17counting_iteratorImNS9_11use_defaultESD_SD_EESD_SD_EENS9_6detail15normal_iteratorINS9_10device_ptrIiEEEESK_iNS9_4plusIvEENS9_8equal_toIvEEiEE10hipError_tPvRmT2_T3_T4_T5_mT6_T7_P12ihipStream_tbENKUlT_T0_E_clISt17integral_constantIbLb1EES14_IbLb0EEEEDaS10_S11_EUlS10_E_NS1_11comp_targetILNS1_3genE2ELNS1_11target_archE906ELNS1_3gpuE6ELNS1_3repE0EEENS1_30default_config_static_selectorELNS0_4arch9wavefront6targetE1EEEvT1_ ; -- Begin function _ZN7rocprim17ROCPRIM_400000_NS6detail17trampoline_kernelINS0_14default_configENS1_27scan_by_key_config_selectorImiEEZZNS1_16scan_by_key_implILNS1_25lookback_scan_determinismE0ELb0ES3_N6thrust23THRUST_200600_302600_NS18transform_iteratorI9row_indexNS9_17counting_iteratorImNS9_11use_defaultESD_SD_EESD_SD_EENS9_6detail15normal_iteratorINS9_10device_ptrIiEEEESK_iNS9_4plusIvEENS9_8equal_toIvEEiEE10hipError_tPvRmT2_T3_T4_T5_mT6_T7_P12ihipStream_tbENKUlT_T0_E_clISt17integral_constantIbLb1EES14_IbLb0EEEEDaS10_S11_EUlS10_E_NS1_11comp_targetILNS1_3genE2ELNS1_11target_archE906ELNS1_3gpuE6ELNS1_3repE0EEENS1_30default_config_static_selectorELNS0_4arch9wavefront6targetE1EEEvT1_
	.globl	_ZN7rocprim17ROCPRIM_400000_NS6detail17trampoline_kernelINS0_14default_configENS1_27scan_by_key_config_selectorImiEEZZNS1_16scan_by_key_implILNS1_25lookback_scan_determinismE0ELb0ES3_N6thrust23THRUST_200600_302600_NS18transform_iteratorI9row_indexNS9_17counting_iteratorImNS9_11use_defaultESD_SD_EESD_SD_EENS9_6detail15normal_iteratorINS9_10device_ptrIiEEEESK_iNS9_4plusIvEENS9_8equal_toIvEEiEE10hipError_tPvRmT2_T3_T4_T5_mT6_T7_P12ihipStream_tbENKUlT_T0_E_clISt17integral_constantIbLb1EES14_IbLb0EEEEDaS10_S11_EUlS10_E_NS1_11comp_targetILNS1_3genE2ELNS1_11target_archE906ELNS1_3gpuE6ELNS1_3repE0EEENS1_30default_config_static_selectorELNS0_4arch9wavefront6targetE1EEEvT1_
	.p2align	8
	.type	_ZN7rocprim17ROCPRIM_400000_NS6detail17trampoline_kernelINS0_14default_configENS1_27scan_by_key_config_selectorImiEEZZNS1_16scan_by_key_implILNS1_25lookback_scan_determinismE0ELb0ES3_N6thrust23THRUST_200600_302600_NS18transform_iteratorI9row_indexNS9_17counting_iteratorImNS9_11use_defaultESD_SD_EESD_SD_EENS9_6detail15normal_iteratorINS9_10device_ptrIiEEEESK_iNS9_4plusIvEENS9_8equal_toIvEEiEE10hipError_tPvRmT2_T3_T4_T5_mT6_T7_P12ihipStream_tbENKUlT_T0_E_clISt17integral_constantIbLb1EES14_IbLb0EEEEDaS10_S11_EUlS10_E_NS1_11comp_targetILNS1_3genE2ELNS1_11target_archE906ELNS1_3gpuE6ELNS1_3repE0EEENS1_30default_config_static_selectorELNS0_4arch9wavefront6targetE1EEEvT1_,@function
_ZN7rocprim17ROCPRIM_400000_NS6detail17trampoline_kernelINS0_14default_configENS1_27scan_by_key_config_selectorImiEEZZNS1_16scan_by_key_implILNS1_25lookback_scan_determinismE0ELb0ES3_N6thrust23THRUST_200600_302600_NS18transform_iteratorI9row_indexNS9_17counting_iteratorImNS9_11use_defaultESD_SD_EESD_SD_EENS9_6detail15normal_iteratorINS9_10device_ptrIiEEEESK_iNS9_4plusIvEENS9_8equal_toIvEEiEE10hipError_tPvRmT2_T3_T4_T5_mT6_T7_P12ihipStream_tbENKUlT_T0_E_clISt17integral_constantIbLb1EES14_IbLb0EEEEDaS10_S11_EUlS10_E_NS1_11comp_targetILNS1_3genE2ELNS1_11target_archE906ELNS1_3gpuE6ELNS1_3repE0EEENS1_30default_config_static_selectorELNS0_4arch9wavefront6targetE1EEEvT1_: ; @_ZN7rocprim17ROCPRIM_400000_NS6detail17trampoline_kernelINS0_14default_configENS1_27scan_by_key_config_selectorImiEEZZNS1_16scan_by_key_implILNS1_25lookback_scan_determinismE0ELb0ES3_N6thrust23THRUST_200600_302600_NS18transform_iteratorI9row_indexNS9_17counting_iteratorImNS9_11use_defaultESD_SD_EESD_SD_EENS9_6detail15normal_iteratorINS9_10device_ptrIiEEEESK_iNS9_4plusIvEENS9_8equal_toIvEEiEE10hipError_tPvRmT2_T3_T4_T5_mT6_T7_P12ihipStream_tbENKUlT_T0_E_clISt17integral_constantIbLb1EES14_IbLb0EEEEDaS10_S11_EUlS10_E_NS1_11comp_targetILNS1_3genE2ELNS1_11target_archE906ELNS1_3gpuE6ELNS1_3repE0EEENS1_30default_config_static_selectorELNS0_4arch9wavefront6targetE1EEEvT1_
; %bb.0:
	.section	.rodata,"a",@progbits
	.p2align	6, 0x0
	.amdhsa_kernel _ZN7rocprim17ROCPRIM_400000_NS6detail17trampoline_kernelINS0_14default_configENS1_27scan_by_key_config_selectorImiEEZZNS1_16scan_by_key_implILNS1_25lookback_scan_determinismE0ELb0ES3_N6thrust23THRUST_200600_302600_NS18transform_iteratorI9row_indexNS9_17counting_iteratorImNS9_11use_defaultESD_SD_EESD_SD_EENS9_6detail15normal_iteratorINS9_10device_ptrIiEEEESK_iNS9_4plusIvEENS9_8equal_toIvEEiEE10hipError_tPvRmT2_T3_T4_T5_mT6_T7_P12ihipStream_tbENKUlT_T0_E_clISt17integral_constantIbLb1EES14_IbLb0EEEEDaS10_S11_EUlS10_E_NS1_11comp_targetILNS1_3genE2ELNS1_11target_archE906ELNS1_3gpuE6ELNS1_3repE0EEENS1_30default_config_static_selectorELNS0_4arch9wavefront6targetE1EEEvT1_
		.amdhsa_group_segment_fixed_size 0
		.amdhsa_private_segment_fixed_size 0
		.amdhsa_kernarg_size 120
		.amdhsa_user_sgpr_count 6
		.amdhsa_user_sgpr_private_segment_buffer 1
		.amdhsa_user_sgpr_dispatch_ptr 0
		.amdhsa_user_sgpr_queue_ptr 0
		.amdhsa_user_sgpr_kernarg_segment_ptr 1
		.amdhsa_user_sgpr_dispatch_id 0
		.amdhsa_user_sgpr_flat_scratch_init 0
		.amdhsa_user_sgpr_kernarg_preload_length 0
		.amdhsa_user_sgpr_kernarg_preload_offset 0
		.amdhsa_user_sgpr_private_segment_size 0
		.amdhsa_uses_dynamic_stack 0
		.amdhsa_system_sgpr_private_segment_wavefront_offset 0
		.amdhsa_system_sgpr_workgroup_id_x 1
		.amdhsa_system_sgpr_workgroup_id_y 0
		.amdhsa_system_sgpr_workgroup_id_z 0
		.amdhsa_system_sgpr_workgroup_info 0
		.amdhsa_system_vgpr_workitem_id 0
		.amdhsa_next_free_vgpr 1
		.amdhsa_next_free_sgpr 0
		.amdhsa_accum_offset 4
		.amdhsa_reserve_vcc 0
		.amdhsa_reserve_flat_scratch 0
		.amdhsa_float_round_mode_32 0
		.amdhsa_float_round_mode_16_64 0
		.amdhsa_float_denorm_mode_32 3
		.amdhsa_float_denorm_mode_16_64 3
		.amdhsa_dx10_clamp 1
		.amdhsa_ieee_mode 1
		.amdhsa_fp16_overflow 0
		.amdhsa_tg_split 0
		.amdhsa_exception_fp_ieee_invalid_op 0
		.amdhsa_exception_fp_denorm_src 0
		.amdhsa_exception_fp_ieee_div_zero 0
		.amdhsa_exception_fp_ieee_overflow 0
		.amdhsa_exception_fp_ieee_underflow 0
		.amdhsa_exception_fp_ieee_inexact 0
		.amdhsa_exception_int_div_zero 0
	.end_amdhsa_kernel
	.section	.text._ZN7rocprim17ROCPRIM_400000_NS6detail17trampoline_kernelINS0_14default_configENS1_27scan_by_key_config_selectorImiEEZZNS1_16scan_by_key_implILNS1_25lookback_scan_determinismE0ELb0ES3_N6thrust23THRUST_200600_302600_NS18transform_iteratorI9row_indexNS9_17counting_iteratorImNS9_11use_defaultESD_SD_EESD_SD_EENS9_6detail15normal_iteratorINS9_10device_ptrIiEEEESK_iNS9_4plusIvEENS9_8equal_toIvEEiEE10hipError_tPvRmT2_T3_T4_T5_mT6_T7_P12ihipStream_tbENKUlT_T0_E_clISt17integral_constantIbLb1EES14_IbLb0EEEEDaS10_S11_EUlS10_E_NS1_11comp_targetILNS1_3genE2ELNS1_11target_archE906ELNS1_3gpuE6ELNS1_3repE0EEENS1_30default_config_static_selectorELNS0_4arch9wavefront6targetE1EEEvT1_,"axG",@progbits,_ZN7rocprim17ROCPRIM_400000_NS6detail17trampoline_kernelINS0_14default_configENS1_27scan_by_key_config_selectorImiEEZZNS1_16scan_by_key_implILNS1_25lookback_scan_determinismE0ELb0ES3_N6thrust23THRUST_200600_302600_NS18transform_iteratorI9row_indexNS9_17counting_iteratorImNS9_11use_defaultESD_SD_EESD_SD_EENS9_6detail15normal_iteratorINS9_10device_ptrIiEEEESK_iNS9_4plusIvEENS9_8equal_toIvEEiEE10hipError_tPvRmT2_T3_T4_T5_mT6_T7_P12ihipStream_tbENKUlT_T0_E_clISt17integral_constantIbLb1EES14_IbLb0EEEEDaS10_S11_EUlS10_E_NS1_11comp_targetILNS1_3genE2ELNS1_11target_archE906ELNS1_3gpuE6ELNS1_3repE0EEENS1_30default_config_static_selectorELNS0_4arch9wavefront6targetE1EEEvT1_,comdat
.Lfunc_end30:
	.size	_ZN7rocprim17ROCPRIM_400000_NS6detail17trampoline_kernelINS0_14default_configENS1_27scan_by_key_config_selectorImiEEZZNS1_16scan_by_key_implILNS1_25lookback_scan_determinismE0ELb0ES3_N6thrust23THRUST_200600_302600_NS18transform_iteratorI9row_indexNS9_17counting_iteratorImNS9_11use_defaultESD_SD_EESD_SD_EENS9_6detail15normal_iteratorINS9_10device_ptrIiEEEESK_iNS9_4plusIvEENS9_8equal_toIvEEiEE10hipError_tPvRmT2_T3_T4_T5_mT6_T7_P12ihipStream_tbENKUlT_T0_E_clISt17integral_constantIbLb1EES14_IbLb0EEEEDaS10_S11_EUlS10_E_NS1_11comp_targetILNS1_3genE2ELNS1_11target_archE906ELNS1_3gpuE6ELNS1_3repE0EEENS1_30default_config_static_selectorELNS0_4arch9wavefront6targetE1EEEvT1_, .Lfunc_end30-_ZN7rocprim17ROCPRIM_400000_NS6detail17trampoline_kernelINS0_14default_configENS1_27scan_by_key_config_selectorImiEEZZNS1_16scan_by_key_implILNS1_25lookback_scan_determinismE0ELb0ES3_N6thrust23THRUST_200600_302600_NS18transform_iteratorI9row_indexNS9_17counting_iteratorImNS9_11use_defaultESD_SD_EESD_SD_EENS9_6detail15normal_iteratorINS9_10device_ptrIiEEEESK_iNS9_4plusIvEENS9_8equal_toIvEEiEE10hipError_tPvRmT2_T3_T4_T5_mT6_T7_P12ihipStream_tbENKUlT_T0_E_clISt17integral_constantIbLb1EES14_IbLb0EEEEDaS10_S11_EUlS10_E_NS1_11comp_targetILNS1_3genE2ELNS1_11target_archE906ELNS1_3gpuE6ELNS1_3repE0EEENS1_30default_config_static_selectorELNS0_4arch9wavefront6targetE1EEEvT1_
                                        ; -- End function
	.section	.AMDGPU.csdata,"",@progbits
; Kernel info:
; codeLenInByte = 0
; NumSgprs: 4
; NumVgprs: 0
; NumAgprs: 0
; TotalNumVgprs: 0
; ScratchSize: 0
; MemoryBound: 0
; FloatMode: 240
; IeeeMode: 1
; LDSByteSize: 0 bytes/workgroup (compile time only)
; SGPRBlocks: 0
; VGPRBlocks: 0
; NumSGPRsForWavesPerEU: 4
; NumVGPRsForWavesPerEU: 1
; AccumOffset: 4
; Occupancy: 8
; WaveLimiterHint : 0
; COMPUTE_PGM_RSRC2:SCRATCH_EN: 0
; COMPUTE_PGM_RSRC2:USER_SGPR: 6
; COMPUTE_PGM_RSRC2:TRAP_HANDLER: 0
; COMPUTE_PGM_RSRC2:TGID_X_EN: 1
; COMPUTE_PGM_RSRC2:TGID_Y_EN: 0
; COMPUTE_PGM_RSRC2:TGID_Z_EN: 0
; COMPUTE_PGM_RSRC2:TIDIG_COMP_CNT: 0
; COMPUTE_PGM_RSRC3_GFX90A:ACCUM_OFFSET: 0
; COMPUTE_PGM_RSRC3_GFX90A:TG_SPLIT: 0
	.section	.text._ZN7rocprim17ROCPRIM_400000_NS6detail17trampoline_kernelINS0_14default_configENS1_27scan_by_key_config_selectorImiEEZZNS1_16scan_by_key_implILNS1_25lookback_scan_determinismE0ELb0ES3_N6thrust23THRUST_200600_302600_NS18transform_iteratorI9row_indexNS9_17counting_iteratorImNS9_11use_defaultESD_SD_EESD_SD_EENS9_6detail15normal_iteratorINS9_10device_ptrIiEEEESK_iNS9_4plusIvEENS9_8equal_toIvEEiEE10hipError_tPvRmT2_T3_T4_T5_mT6_T7_P12ihipStream_tbENKUlT_T0_E_clISt17integral_constantIbLb1EES14_IbLb0EEEEDaS10_S11_EUlS10_E_NS1_11comp_targetILNS1_3genE10ELNS1_11target_archE1200ELNS1_3gpuE4ELNS1_3repE0EEENS1_30default_config_static_selectorELNS0_4arch9wavefront6targetE1EEEvT1_,"axG",@progbits,_ZN7rocprim17ROCPRIM_400000_NS6detail17trampoline_kernelINS0_14default_configENS1_27scan_by_key_config_selectorImiEEZZNS1_16scan_by_key_implILNS1_25lookback_scan_determinismE0ELb0ES3_N6thrust23THRUST_200600_302600_NS18transform_iteratorI9row_indexNS9_17counting_iteratorImNS9_11use_defaultESD_SD_EESD_SD_EENS9_6detail15normal_iteratorINS9_10device_ptrIiEEEESK_iNS9_4plusIvEENS9_8equal_toIvEEiEE10hipError_tPvRmT2_T3_T4_T5_mT6_T7_P12ihipStream_tbENKUlT_T0_E_clISt17integral_constantIbLb1EES14_IbLb0EEEEDaS10_S11_EUlS10_E_NS1_11comp_targetILNS1_3genE10ELNS1_11target_archE1200ELNS1_3gpuE4ELNS1_3repE0EEENS1_30default_config_static_selectorELNS0_4arch9wavefront6targetE1EEEvT1_,comdat
	.protected	_ZN7rocprim17ROCPRIM_400000_NS6detail17trampoline_kernelINS0_14default_configENS1_27scan_by_key_config_selectorImiEEZZNS1_16scan_by_key_implILNS1_25lookback_scan_determinismE0ELb0ES3_N6thrust23THRUST_200600_302600_NS18transform_iteratorI9row_indexNS9_17counting_iteratorImNS9_11use_defaultESD_SD_EESD_SD_EENS9_6detail15normal_iteratorINS9_10device_ptrIiEEEESK_iNS9_4plusIvEENS9_8equal_toIvEEiEE10hipError_tPvRmT2_T3_T4_T5_mT6_T7_P12ihipStream_tbENKUlT_T0_E_clISt17integral_constantIbLb1EES14_IbLb0EEEEDaS10_S11_EUlS10_E_NS1_11comp_targetILNS1_3genE10ELNS1_11target_archE1200ELNS1_3gpuE4ELNS1_3repE0EEENS1_30default_config_static_selectorELNS0_4arch9wavefront6targetE1EEEvT1_ ; -- Begin function _ZN7rocprim17ROCPRIM_400000_NS6detail17trampoline_kernelINS0_14default_configENS1_27scan_by_key_config_selectorImiEEZZNS1_16scan_by_key_implILNS1_25lookback_scan_determinismE0ELb0ES3_N6thrust23THRUST_200600_302600_NS18transform_iteratorI9row_indexNS9_17counting_iteratorImNS9_11use_defaultESD_SD_EESD_SD_EENS9_6detail15normal_iteratorINS9_10device_ptrIiEEEESK_iNS9_4plusIvEENS9_8equal_toIvEEiEE10hipError_tPvRmT2_T3_T4_T5_mT6_T7_P12ihipStream_tbENKUlT_T0_E_clISt17integral_constantIbLb1EES14_IbLb0EEEEDaS10_S11_EUlS10_E_NS1_11comp_targetILNS1_3genE10ELNS1_11target_archE1200ELNS1_3gpuE4ELNS1_3repE0EEENS1_30default_config_static_selectorELNS0_4arch9wavefront6targetE1EEEvT1_
	.globl	_ZN7rocprim17ROCPRIM_400000_NS6detail17trampoline_kernelINS0_14default_configENS1_27scan_by_key_config_selectorImiEEZZNS1_16scan_by_key_implILNS1_25lookback_scan_determinismE0ELb0ES3_N6thrust23THRUST_200600_302600_NS18transform_iteratorI9row_indexNS9_17counting_iteratorImNS9_11use_defaultESD_SD_EESD_SD_EENS9_6detail15normal_iteratorINS9_10device_ptrIiEEEESK_iNS9_4plusIvEENS9_8equal_toIvEEiEE10hipError_tPvRmT2_T3_T4_T5_mT6_T7_P12ihipStream_tbENKUlT_T0_E_clISt17integral_constantIbLb1EES14_IbLb0EEEEDaS10_S11_EUlS10_E_NS1_11comp_targetILNS1_3genE10ELNS1_11target_archE1200ELNS1_3gpuE4ELNS1_3repE0EEENS1_30default_config_static_selectorELNS0_4arch9wavefront6targetE1EEEvT1_
	.p2align	8
	.type	_ZN7rocprim17ROCPRIM_400000_NS6detail17trampoline_kernelINS0_14default_configENS1_27scan_by_key_config_selectorImiEEZZNS1_16scan_by_key_implILNS1_25lookback_scan_determinismE0ELb0ES3_N6thrust23THRUST_200600_302600_NS18transform_iteratorI9row_indexNS9_17counting_iteratorImNS9_11use_defaultESD_SD_EESD_SD_EENS9_6detail15normal_iteratorINS9_10device_ptrIiEEEESK_iNS9_4plusIvEENS9_8equal_toIvEEiEE10hipError_tPvRmT2_T3_T4_T5_mT6_T7_P12ihipStream_tbENKUlT_T0_E_clISt17integral_constantIbLb1EES14_IbLb0EEEEDaS10_S11_EUlS10_E_NS1_11comp_targetILNS1_3genE10ELNS1_11target_archE1200ELNS1_3gpuE4ELNS1_3repE0EEENS1_30default_config_static_selectorELNS0_4arch9wavefront6targetE1EEEvT1_,@function
_ZN7rocprim17ROCPRIM_400000_NS6detail17trampoline_kernelINS0_14default_configENS1_27scan_by_key_config_selectorImiEEZZNS1_16scan_by_key_implILNS1_25lookback_scan_determinismE0ELb0ES3_N6thrust23THRUST_200600_302600_NS18transform_iteratorI9row_indexNS9_17counting_iteratorImNS9_11use_defaultESD_SD_EESD_SD_EENS9_6detail15normal_iteratorINS9_10device_ptrIiEEEESK_iNS9_4plusIvEENS9_8equal_toIvEEiEE10hipError_tPvRmT2_T3_T4_T5_mT6_T7_P12ihipStream_tbENKUlT_T0_E_clISt17integral_constantIbLb1EES14_IbLb0EEEEDaS10_S11_EUlS10_E_NS1_11comp_targetILNS1_3genE10ELNS1_11target_archE1200ELNS1_3gpuE4ELNS1_3repE0EEENS1_30default_config_static_selectorELNS0_4arch9wavefront6targetE1EEEvT1_: ; @_ZN7rocprim17ROCPRIM_400000_NS6detail17trampoline_kernelINS0_14default_configENS1_27scan_by_key_config_selectorImiEEZZNS1_16scan_by_key_implILNS1_25lookback_scan_determinismE0ELb0ES3_N6thrust23THRUST_200600_302600_NS18transform_iteratorI9row_indexNS9_17counting_iteratorImNS9_11use_defaultESD_SD_EESD_SD_EENS9_6detail15normal_iteratorINS9_10device_ptrIiEEEESK_iNS9_4plusIvEENS9_8equal_toIvEEiEE10hipError_tPvRmT2_T3_T4_T5_mT6_T7_P12ihipStream_tbENKUlT_T0_E_clISt17integral_constantIbLb1EES14_IbLb0EEEEDaS10_S11_EUlS10_E_NS1_11comp_targetILNS1_3genE10ELNS1_11target_archE1200ELNS1_3gpuE4ELNS1_3repE0EEENS1_30default_config_static_selectorELNS0_4arch9wavefront6targetE1EEEvT1_
; %bb.0:
	.section	.rodata,"a",@progbits
	.p2align	6, 0x0
	.amdhsa_kernel _ZN7rocprim17ROCPRIM_400000_NS6detail17trampoline_kernelINS0_14default_configENS1_27scan_by_key_config_selectorImiEEZZNS1_16scan_by_key_implILNS1_25lookback_scan_determinismE0ELb0ES3_N6thrust23THRUST_200600_302600_NS18transform_iteratorI9row_indexNS9_17counting_iteratorImNS9_11use_defaultESD_SD_EESD_SD_EENS9_6detail15normal_iteratorINS9_10device_ptrIiEEEESK_iNS9_4plusIvEENS9_8equal_toIvEEiEE10hipError_tPvRmT2_T3_T4_T5_mT6_T7_P12ihipStream_tbENKUlT_T0_E_clISt17integral_constantIbLb1EES14_IbLb0EEEEDaS10_S11_EUlS10_E_NS1_11comp_targetILNS1_3genE10ELNS1_11target_archE1200ELNS1_3gpuE4ELNS1_3repE0EEENS1_30default_config_static_selectorELNS0_4arch9wavefront6targetE1EEEvT1_
		.amdhsa_group_segment_fixed_size 0
		.amdhsa_private_segment_fixed_size 0
		.amdhsa_kernarg_size 120
		.amdhsa_user_sgpr_count 6
		.amdhsa_user_sgpr_private_segment_buffer 1
		.amdhsa_user_sgpr_dispatch_ptr 0
		.amdhsa_user_sgpr_queue_ptr 0
		.amdhsa_user_sgpr_kernarg_segment_ptr 1
		.amdhsa_user_sgpr_dispatch_id 0
		.amdhsa_user_sgpr_flat_scratch_init 0
		.amdhsa_user_sgpr_kernarg_preload_length 0
		.amdhsa_user_sgpr_kernarg_preload_offset 0
		.amdhsa_user_sgpr_private_segment_size 0
		.amdhsa_uses_dynamic_stack 0
		.amdhsa_system_sgpr_private_segment_wavefront_offset 0
		.amdhsa_system_sgpr_workgroup_id_x 1
		.amdhsa_system_sgpr_workgroup_id_y 0
		.amdhsa_system_sgpr_workgroup_id_z 0
		.amdhsa_system_sgpr_workgroup_info 0
		.amdhsa_system_vgpr_workitem_id 0
		.amdhsa_next_free_vgpr 1
		.amdhsa_next_free_sgpr 0
		.amdhsa_accum_offset 4
		.amdhsa_reserve_vcc 0
		.amdhsa_reserve_flat_scratch 0
		.amdhsa_float_round_mode_32 0
		.amdhsa_float_round_mode_16_64 0
		.amdhsa_float_denorm_mode_32 3
		.amdhsa_float_denorm_mode_16_64 3
		.amdhsa_dx10_clamp 1
		.amdhsa_ieee_mode 1
		.amdhsa_fp16_overflow 0
		.amdhsa_tg_split 0
		.amdhsa_exception_fp_ieee_invalid_op 0
		.amdhsa_exception_fp_denorm_src 0
		.amdhsa_exception_fp_ieee_div_zero 0
		.amdhsa_exception_fp_ieee_overflow 0
		.amdhsa_exception_fp_ieee_underflow 0
		.amdhsa_exception_fp_ieee_inexact 0
		.amdhsa_exception_int_div_zero 0
	.end_amdhsa_kernel
	.section	.text._ZN7rocprim17ROCPRIM_400000_NS6detail17trampoline_kernelINS0_14default_configENS1_27scan_by_key_config_selectorImiEEZZNS1_16scan_by_key_implILNS1_25lookback_scan_determinismE0ELb0ES3_N6thrust23THRUST_200600_302600_NS18transform_iteratorI9row_indexNS9_17counting_iteratorImNS9_11use_defaultESD_SD_EESD_SD_EENS9_6detail15normal_iteratorINS9_10device_ptrIiEEEESK_iNS9_4plusIvEENS9_8equal_toIvEEiEE10hipError_tPvRmT2_T3_T4_T5_mT6_T7_P12ihipStream_tbENKUlT_T0_E_clISt17integral_constantIbLb1EES14_IbLb0EEEEDaS10_S11_EUlS10_E_NS1_11comp_targetILNS1_3genE10ELNS1_11target_archE1200ELNS1_3gpuE4ELNS1_3repE0EEENS1_30default_config_static_selectorELNS0_4arch9wavefront6targetE1EEEvT1_,"axG",@progbits,_ZN7rocprim17ROCPRIM_400000_NS6detail17trampoline_kernelINS0_14default_configENS1_27scan_by_key_config_selectorImiEEZZNS1_16scan_by_key_implILNS1_25lookback_scan_determinismE0ELb0ES3_N6thrust23THRUST_200600_302600_NS18transform_iteratorI9row_indexNS9_17counting_iteratorImNS9_11use_defaultESD_SD_EESD_SD_EENS9_6detail15normal_iteratorINS9_10device_ptrIiEEEESK_iNS9_4plusIvEENS9_8equal_toIvEEiEE10hipError_tPvRmT2_T3_T4_T5_mT6_T7_P12ihipStream_tbENKUlT_T0_E_clISt17integral_constantIbLb1EES14_IbLb0EEEEDaS10_S11_EUlS10_E_NS1_11comp_targetILNS1_3genE10ELNS1_11target_archE1200ELNS1_3gpuE4ELNS1_3repE0EEENS1_30default_config_static_selectorELNS0_4arch9wavefront6targetE1EEEvT1_,comdat
.Lfunc_end31:
	.size	_ZN7rocprim17ROCPRIM_400000_NS6detail17trampoline_kernelINS0_14default_configENS1_27scan_by_key_config_selectorImiEEZZNS1_16scan_by_key_implILNS1_25lookback_scan_determinismE0ELb0ES3_N6thrust23THRUST_200600_302600_NS18transform_iteratorI9row_indexNS9_17counting_iteratorImNS9_11use_defaultESD_SD_EESD_SD_EENS9_6detail15normal_iteratorINS9_10device_ptrIiEEEESK_iNS9_4plusIvEENS9_8equal_toIvEEiEE10hipError_tPvRmT2_T3_T4_T5_mT6_T7_P12ihipStream_tbENKUlT_T0_E_clISt17integral_constantIbLb1EES14_IbLb0EEEEDaS10_S11_EUlS10_E_NS1_11comp_targetILNS1_3genE10ELNS1_11target_archE1200ELNS1_3gpuE4ELNS1_3repE0EEENS1_30default_config_static_selectorELNS0_4arch9wavefront6targetE1EEEvT1_, .Lfunc_end31-_ZN7rocprim17ROCPRIM_400000_NS6detail17trampoline_kernelINS0_14default_configENS1_27scan_by_key_config_selectorImiEEZZNS1_16scan_by_key_implILNS1_25lookback_scan_determinismE0ELb0ES3_N6thrust23THRUST_200600_302600_NS18transform_iteratorI9row_indexNS9_17counting_iteratorImNS9_11use_defaultESD_SD_EESD_SD_EENS9_6detail15normal_iteratorINS9_10device_ptrIiEEEESK_iNS9_4plusIvEENS9_8equal_toIvEEiEE10hipError_tPvRmT2_T3_T4_T5_mT6_T7_P12ihipStream_tbENKUlT_T0_E_clISt17integral_constantIbLb1EES14_IbLb0EEEEDaS10_S11_EUlS10_E_NS1_11comp_targetILNS1_3genE10ELNS1_11target_archE1200ELNS1_3gpuE4ELNS1_3repE0EEENS1_30default_config_static_selectorELNS0_4arch9wavefront6targetE1EEEvT1_
                                        ; -- End function
	.section	.AMDGPU.csdata,"",@progbits
; Kernel info:
; codeLenInByte = 0
; NumSgprs: 4
; NumVgprs: 0
; NumAgprs: 0
; TotalNumVgprs: 0
; ScratchSize: 0
; MemoryBound: 0
; FloatMode: 240
; IeeeMode: 1
; LDSByteSize: 0 bytes/workgroup (compile time only)
; SGPRBlocks: 0
; VGPRBlocks: 0
; NumSGPRsForWavesPerEU: 4
; NumVGPRsForWavesPerEU: 1
; AccumOffset: 4
; Occupancy: 8
; WaveLimiterHint : 0
; COMPUTE_PGM_RSRC2:SCRATCH_EN: 0
; COMPUTE_PGM_RSRC2:USER_SGPR: 6
; COMPUTE_PGM_RSRC2:TRAP_HANDLER: 0
; COMPUTE_PGM_RSRC2:TGID_X_EN: 1
; COMPUTE_PGM_RSRC2:TGID_Y_EN: 0
; COMPUTE_PGM_RSRC2:TGID_Z_EN: 0
; COMPUTE_PGM_RSRC2:TIDIG_COMP_CNT: 0
; COMPUTE_PGM_RSRC3_GFX90A:ACCUM_OFFSET: 0
; COMPUTE_PGM_RSRC3_GFX90A:TG_SPLIT: 0
	.section	.text._ZN7rocprim17ROCPRIM_400000_NS6detail17trampoline_kernelINS0_14default_configENS1_27scan_by_key_config_selectorImiEEZZNS1_16scan_by_key_implILNS1_25lookback_scan_determinismE0ELb0ES3_N6thrust23THRUST_200600_302600_NS18transform_iteratorI9row_indexNS9_17counting_iteratorImNS9_11use_defaultESD_SD_EESD_SD_EENS9_6detail15normal_iteratorINS9_10device_ptrIiEEEESK_iNS9_4plusIvEENS9_8equal_toIvEEiEE10hipError_tPvRmT2_T3_T4_T5_mT6_T7_P12ihipStream_tbENKUlT_T0_E_clISt17integral_constantIbLb1EES14_IbLb0EEEEDaS10_S11_EUlS10_E_NS1_11comp_targetILNS1_3genE9ELNS1_11target_archE1100ELNS1_3gpuE3ELNS1_3repE0EEENS1_30default_config_static_selectorELNS0_4arch9wavefront6targetE1EEEvT1_,"axG",@progbits,_ZN7rocprim17ROCPRIM_400000_NS6detail17trampoline_kernelINS0_14default_configENS1_27scan_by_key_config_selectorImiEEZZNS1_16scan_by_key_implILNS1_25lookback_scan_determinismE0ELb0ES3_N6thrust23THRUST_200600_302600_NS18transform_iteratorI9row_indexNS9_17counting_iteratorImNS9_11use_defaultESD_SD_EESD_SD_EENS9_6detail15normal_iteratorINS9_10device_ptrIiEEEESK_iNS9_4plusIvEENS9_8equal_toIvEEiEE10hipError_tPvRmT2_T3_T4_T5_mT6_T7_P12ihipStream_tbENKUlT_T0_E_clISt17integral_constantIbLb1EES14_IbLb0EEEEDaS10_S11_EUlS10_E_NS1_11comp_targetILNS1_3genE9ELNS1_11target_archE1100ELNS1_3gpuE3ELNS1_3repE0EEENS1_30default_config_static_selectorELNS0_4arch9wavefront6targetE1EEEvT1_,comdat
	.protected	_ZN7rocprim17ROCPRIM_400000_NS6detail17trampoline_kernelINS0_14default_configENS1_27scan_by_key_config_selectorImiEEZZNS1_16scan_by_key_implILNS1_25lookback_scan_determinismE0ELb0ES3_N6thrust23THRUST_200600_302600_NS18transform_iteratorI9row_indexNS9_17counting_iteratorImNS9_11use_defaultESD_SD_EESD_SD_EENS9_6detail15normal_iteratorINS9_10device_ptrIiEEEESK_iNS9_4plusIvEENS9_8equal_toIvEEiEE10hipError_tPvRmT2_T3_T4_T5_mT6_T7_P12ihipStream_tbENKUlT_T0_E_clISt17integral_constantIbLb1EES14_IbLb0EEEEDaS10_S11_EUlS10_E_NS1_11comp_targetILNS1_3genE9ELNS1_11target_archE1100ELNS1_3gpuE3ELNS1_3repE0EEENS1_30default_config_static_selectorELNS0_4arch9wavefront6targetE1EEEvT1_ ; -- Begin function _ZN7rocprim17ROCPRIM_400000_NS6detail17trampoline_kernelINS0_14default_configENS1_27scan_by_key_config_selectorImiEEZZNS1_16scan_by_key_implILNS1_25lookback_scan_determinismE0ELb0ES3_N6thrust23THRUST_200600_302600_NS18transform_iteratorI9row_indexNS9_17counting_iteratorImNS9_11use_defaultESD_SD_EESD_SD_EENS9_6detail15normal_iteratorINS9_10device_ptrIiEEEESK_iNS9_4plusIvEENS9_8equal_toIvEEiEE10hipError_tPvRmT2_T3_T4_T5_mT6_T7_P12ihipStream_tbENKUlT_T0_E_clISt17integral_constantIbLb1EES14_IbLb0EEEEDaS10_S11_EUlS10_E_NS1_11comp_targetILNS1_3genE9ELNS1_11target_archE1100ELNS1_3gpuE3ELNS1_3repE0EEENS1_30default_config_static_selectorELNS0_4arch9wavefront6targetE1EEEvT1_
	.globl	_ZN7rocprim17ROCPRIM_400000_NS6detail17trampoline_kernelINS0_14default_configENS1_27scan_by_key_config_selectorImiEEZZNS1_16scan_by_key_implILNS1_25lookback_scan_determinismE0ELb0ES3_N6thrust23THRUST_200600_302600_NS18transform_iteratorI9row_indexNS9_17counting_iteratorImNS9_11use_defaultESD_SD_EESD_SD_EENS9_6detail15normal_iteratorINS9_10device_ptrIiEEEESK_iNS9_4plusIvEENS9_8equal_toIvEEiEE10hipError_tPvRmT2_T3_T4_T5_mT6_T7_P12ihipStream_tbENKUlT_T0_E_clISt17integral_constantIbLb1EES14_IbLb0EEEEDaS10_S11_EUlS10_E_NS1_11comp_targetILNS1_3genE9ELNS1_11target_archE1100ELNS1_3gpuE3ELNS1_3repE0EEENS1_30default_config_static_selectorELNS0_4arch9wavefront6targetE1EEEvT1_
	.p2align	8
	.type	_ZN7rocprim17ROCPRIM_400000_NS6detail17trampoline_kernelINS0_14default_configENS1_27scan_by_key_config_selectorImiEEZZNS1_16scan_by_key_implILNS1_25lookback_scan_determinismE0ELb0ES3_N6thrust23THRUST_200600_302600_NS18transform_iteratorI9row_indexNS9_17counting_iteratorImNS9_11use_defaultESD_SD_EESD_SD_EENS9_6detail15normal_iteratorINS9_10device_ptrIiEEEESK_iNS9_4plusIvEENS9_8equal_toIvEEiEE10hipError_tPvRmT2_T3_T4_T5_mT6_T7_P12ihipStream_tbENKUlT_T0_E_clISt17integral_constantIbLb1EES14_IbLb0EEEEDaS10_S11_EUlS10_E_NS1_11comp_targetILNS1_3genE9ELNS1_11target_archE1100ELNS1_3gpuE3ELNS1_3repE0EEENS1_30default_config_static_selectorELNS0_4arch9wavefront6targetE1EEEvT1_,@function
_ZN7rocprim17ROCPRIM_400000_NS6detail17trampoline_kernelINS0_14default_configENS1_27scan_by_key_config_selectorImiEEZZNS1_16scan_by_key_implILNS1_25lookback_scan_determinismE0ELb0ES3_N6thrust23THRUST_200600_302600_NS18transform_iteratorI9row_indexNS9_17counting_iteratorImNS9_11use_defaultESD_SD_EESD_SD_EENS9_6detail15normal_iteratorINS9_10device_ptrIiEEEESK_iNS9_4plusIvEENS9_8equal_toIvEEiEE10hipError_tPvRmT2_T3_T4_T5_mT6_T7_P12ihipStream_tbENKUlT_T0_E_clISt17integral_constantIbLb1EES14_IbLb0EEEEDaS10_S11_EUlS10_E_NS1_11comp_targetILNS1_3genE9ELNS1_11target_archE1100ELNS1_3gpuE3ELNS1_3repE0EEENS1_30default_config_static_selectorELNS0_4arch9wavefront6targetE1EEEvT1_: ; @_ZN7rocprim17ROCPRIM_400000_NS6detail17trampoline_kernelINS0_14default_configENS1_27scan_by_key_config_selectorImiEEZZNS1_16scan_by_key_implILNS1_25lookback_scan_determinismE0ELb0ES3_N6thrust23THRUST_200600_302600_NS18transform_iteratorI9row_indexNS9_17counting_iteratorImNS9_11use_defaultESD_SD_EESD_SD_EENS9_6detail15normal_iteratorINS9_10device_ptrIiEEEESK_iNS9_4plusIvEENS9_8equal_toIvEEiEE10hipError_tPvRmT2_T3_T4_T5_mT6_T7_P12ihipStream_tbENKUlT_T0_E_clISt17integral_constantIbLb1EES14_IbLb0EEEEDaS10_S11_EUlS10_E_NS1_11comp_targetILNS1_3genE9ELNS1_11target_archE1100ELNS1_3gpuE3ELNS1_3repE0EEENS1_30default_config_static_selectorELNS0_4arch9wavefront6targetE1EEEvT1_
; %bb.0:
	.section	.rodata,"a",@progbits
	.p2align	6, 0x0
	.amdhsa_kernel _ZN7rocprim17ROCPRIM_400000_NS6detail17trampoline_kernelINS0_14default_configENS1_27scan_by_key_config_selectorImiEEZZNS1_16scan_by_key_implILNS1_25lookback_scan_determinismE0ELb0ES3_N6thrust23THRUST_200600_302600_NS18transform_iteratorI9row_indexNS9_17counting_iteratorImNS9_11use_defaultESD_SD_EESD_SD_EENS9_6detail15normal_iteratorINS9_10device_ptrIiEEEESK_iNS9_4plusIvEENS9_8equal_toIvEEiEE10hipError_tPvRmT2_T3_T4_T5_mT6_T7_P12ihipStream_tbENKUlT_T0_E_clISt17integral_constantIbLb1EES14_IbLb0EEEEDaS10_S11_EUlS10_E_NS1_11comp_targetILNS1_3genE9ELNS1_11target_archE1100ELNS1_3gpuE3ELNS1_3repE0EEENS1_30default_config_static_selectorELNS0_4arch9wavefront6targetE1EEEvT1_
		.amdhsa_group_segment_fixed_size 0
		.amdhsa_private_segment_fixed_size 0
		.amdhsa_kernarg_size 120
		.amdhsa_user_sgpr_count 6
		.amdhsa_user_sgpr_private_segment_buffer 1
		.amdhsa_user_sgpr_dispatch_ptr 0
		.amdhsa_user_sgpr_queue_ptr 0
		.amdhsa_user_sgpr_kernarg_segment_ptr 1
		.amdhsa_user_sgpr_dispatch_id 0
		.amdhsa_user_sgpr_flat_scratch_init 0
		.amdhsa_user_sgpr_kernarg_preload_length 0
		.amdhsa_user_sgpr_kernarg_preload_offset 0
		.amdhsa_user_sgpr_private_segment_size 0
		.amdhsa_uses_dynamic_stack 0
		.amdhsa_system_sgpr_private_segment_wavefront_offset 0
		.amdhsa_system_sgpr_workgroup_id_x 1
		.amdhsa_system_sgpr_workgroup_id_y 0
		.amdhsa_system_sgpr_workgroup_id_z 0
		.amdhsa_system_sgpr_workgroup_info 0
		.amdhsa_system_vgpr_workitem_id 0
		.amdhsa_next_free_vgpr 1
		.amdhsa_next_free_sgpr 0
		.amdhsa_accum_offset 4
		.amdhsa_reserve_vcc 0
		.amdhsa_reserve_flat_scratch 0
		.amdhsa_float_round_mode_32 0
		.amdhsa_float_round_mode_16_64 0
		.amdhsa_float_denorm_mode_32 3
		.amdhsa_float_denorm_mode_16_64 3
		.amdhsa_dx10_clamp 1
		.amdhsa_ieee_mode 1
		.amdhsa_fp16_overflow 0
		.amdhsa_tg_split 0
		.amdhsa_exception_fp_ieee_invalid_op 0
		.amdhsa_exception_fp_denorm_src 0
		.amdhsa_exception_fp_ieee_div_zero 0
		.amdhsa_exception_fp_ieee_overflow 0
		.amdhsa_exception_fp_ieee_underflow 0
		.amdhsa_exception_fp_ieee_inexact 0
		.amdhsa_exception_int_div_zero 0
	.end_amdhsa_kernel
	.section	.text._ZN7rocprim17ROCPRIM_400000_NS6detail17trampoline_kernelINS0_14default_configENS1_27scan_by_key_config_selectorImiEEZZNS1_16scan_by_key_implILNS1_25lookback_scan_determinismE0ELb0ES3_N6thrust23THRUST_200600_302600_NS18transform_iteratorI9row_indexNS9_17counting_iteratorImNS9_11use_defaultESD_SD_EESD_SD_EENS9_6detail15normal_iteratorINS9_10device_ptrIiEEEESK_iNS9_4plusIvEENS9_8equal_toIvEEiEE10hipError_tPvRmT2_T3_T4_T5_mT6_T7_P12ihipStream_tbENKUlT_T0_E_clISt17integral_constantIbLb1EES14_IbLb0EEEEDaS10_S11_EUlS10_E_NS1_11comp_targetILNS1_3genE9ELNS1_11target_archE1100ELNS1_3gpuE3ELNS1_3repE0EEENS1_30default_config_static_selectorELNS0_4arch9wavefront6targetE1EEEvT1_,"axG",@progbits,_ZN7rocprim17ROCPRIM_400000_NS6detail17trampoline_kernelINS0_14default_configENS1_27scan_by_key_config_selectorImiEEZZNS1_16scan_by_key_implILNS1_25lookback_scan_determinismE0ELb0ES3_N6thrust23THRUST_200600_302600_NS18transform_iteratorI9row_indexNS9_17counting_iteratorImNS9_11use_defaultESD_SD_EESD_SD_EENS9_6detail15normal_iteratorINS9_10device_ptrIiEEEESK_iNS9_4plusIvEENS9_8equal_toIvEEiEE10hipError_tPvRmT2_T3_T4_T5_mT6_T7_P12ihipStream_tbENKUlT_T0_E_clISt17integral_constantIbLb1EES14_IbLb0EEEEDaS10_S11_EUlS10_E_NS1_11comp_targetILNS1_3genE9ELNS1_11target_archE1100ELNS1_3gpuE3ELNS1_3repE0EEENS1_30default_config_static_selectorELNS0_4arch9wavefront6targetE1EEEvT1_,comdat
.Lfunc_end32:
	.size	_ZN7rocprim17ROCPRIM_400000_NS6detail17trampoline_kernelINS0_14default_configENS1_27scan_by_key_config_selectorImiEEZZNS1_16scan_by_key_implILNS1_25lookback_scan_determinismE0ELb0ES3_N6thrust23THRUST_200600_302600_NS18transform_iteratorI9row_indexNS9_17counting_iteratorImNS9_11use_defaultESD_SD_EESD_SD_EENS9_6detail15normal_iteratorINS9_10device_ptrIiEEEESK_iNS9_4plusIvEENS9_8equal_toIvEEiEE10hipError_tPvRmT2_T3_T4_T5_mT6_T7_P12ihipStream_tbENKUlT_T0_E_clISt17integral_constantIbLb1EES14_IbLb0EEEEDaS10_S11_EUlS10_E_NS1_11comp_targetILNS1_3genE9ELNS1_11target_archE1100ELNS1_3gpuE3ELNS1_3repE0EEENS1_30default_config_static_selectorELNS0_4arch9wavefront6targetE1EEEvT1_, .Lfunc_end32-_ZN7rocprim17ROCPRIM_400000_NS6detail17trampoline_kernelINS0_14default_configENS1_27scan_by_key_config_selectorImiEEZZNS1_16scan_by_key_implILNS1_25lookback_scan_determinismE0ELb0ES3_N6thrust23THRUST_200600_302600_NS18transform_iteratorI9row_indexNS9_17counting_iteratorImNS9_11use_defaultESD_SD_EESD_SD_EENS9_6detail15normal_iteratorINS9_10device_ptrIiEEEESK_iNS9_4plusIvEENS9_8equal_toIvEEiEE10hipError_tPvRmT2_T3_T4_T5_mT6_T7_P12ihipStream_tbENKUlT_T0_E_clISt17integral_constantIbLb1EES14_IbLb0EEEEDaS10_S11_EUlS10_E_NS1_11comp_targetILNS1_3genE9ELNS1_11target_archE1100ELNS1_3gpuE3ELNS1_3repE0EEENS1_30default_config_static_selectorELNS0_4arch9wavefront6targetE1EEEvT1_
                                        ; -- End function
	.section	.AMDGPU.csdata,"",@progbits
; Kernel info:
; codeLenInByte = 0
; NumSgprs: 4
; NumVgprs: 0
; NumAgprs: 0
; TotalNumVgprs: 0
; ScratchSize: 0
; MemoryBound: 0
; FloatMode: 240
; IeeeMode: 1
; LDSByteSize: 0 bytes/workgroup (compile time only)
; SGPRBlocks: 0
; VGPRBlocks: 0
; NumSGPRsForWavesPerEU: 4
; NumVGPRsForWavesPerEU: 1
; AccumOffset: 4
; Occupancy: 8
; WaveLimiterHint : 0
; COMPUTE_PGM_RSRC2:SCRATCH_EN: 0
; COMPUTE_PGM_RSRC2:USER_SGPR: 6
; COMPUTE_PGM_RSRC2:TRAP_HANDLER: 0
; COMPUTE_PGM_RSRC2:TGID_X_EN: 1
; COMPUTE_PGM_RSRC2:TGID_Y_EN: 0
; COMPUTE_PGM_RSRC2:TGID_Z_EN: 0
; COMPUTE_PGM_RSRC2:TIDIG_COMP_CNT: 0
; COMPUTE_PGM_RSRC3_GFX90A:ACCUM_OFFSET: 0
; COMPUTE_PGM_RSRC3_GFX90A:TG_SPLIT: 0
	.section	.text._ZN7rocprim17ROCPRIM_400000_NS6detail17trampoline_kernelINS0_14default_configENS1_27scan_by_key_config_selectorImiEEZZNS1_16scan_by_key_implILNS1_25lookback_scan_determinismE0ELb0ES3_N6thrust23THRUST_200600_302600_NS18transform_iteratorI9row_indexNS9_17counting_iteratorImNS9_11use_defaultESD_SD_EESD_SD_EENS9_6detail15normal_iteratorINS9_10device_ptrIiEEEESK_iNS9_4plusIvEENS9_8equal_toIvEEiEE10hipError_tPvRmT2_T3_T4_T5_mT6_T7_P12ihipStream_tbENKUlT_T0_E_clISt17integral_constantIbLb1EES14_IbLb0EEEEDaS10_S11_EUlS10_E_NS1_11comp_targetILNS1_3genE8ELNS1_11target_archE1030ELNS1_3gpuE2ELNS1_3repE0EEENS1_30default_config_static_selectorELNS0_4arch9wavefront6targetE1EEEvT1_,"axG",@progbits,_ZN7rocprim17ROCPRIM_400000_NS6detail17trampoline_kernelINS0_14default_configENS1_27scan_by_key_config_selectorImiEEZZNS1_16scan_by_key_implILNS1_25lookback_scan_determinismE0ELb0ES3_N6thrust23THRUST_200600_302600_NS18transform_iteratorI9row_indexNS9_17counting_iteratorImNS9_11use_defaultESD_SD_EESD_SD_EENS9_6detail15normal_iteratorINS9_10device_ptrIiEEEESK_iNS9_4plusIvEENS9_8equal_toIvEEiEE10hipError_tPvRmT2_T3_T4_T5_mT6_T7_P12ihipStream_tbENKUlT_T0_E_clISt17integral_constantIbLb1EES14_IbLb0EEEEDaS10_S11_EUlS10_E_NS1_11comp_targetILNS1_3genE8ELNS1_11target_archE1030ELNS1_3gpuE2ELNS1_3repE0EEENS1_30default_config_static_selectorELNS0_4arch9wavefront6targetE1EEEvT1_,comdat
	.protected	_ZN7rocprim17ROCPRIM_400000_NS6detail17trampoline_kernelINS0_14default_configENS1_27scan_by_key_config_selectorImiEEZZNS1_16scan_by_key_implILNS1_25lookback_scan_determinismE0ELb0ES3_N6thrust23THRUST_200600_302600_NS18transform_iteratorI9row_indexNS9_17counting_iteratorImNS9_11use_defaultESD_SD_EESD_SD_EENS9_6detail15normal_iteratorINS9_10device_ptrIiEEEESK_iNS9_4plusIvEENS9_8equal_toIvEEiEE10hipError_tPvRmT2_T3_T4_T5_mT6_T7_P12ihipStream_tbENKUlT_T0_E_clISt17integral_constantIbLb1EES14_IbLb0EEEEDaS10_S11_EUlS10_E_NS1_11comp_targetILNS1_3genE8ELNS1_11target_archE1030ELNS1_3gpuE2ELNS1_3repE0EEENS1_30default_config_static_selectorELNS0_4arch9wavefront6targetE1EEEvT1_ ; -- Begin function _ZN7rocprim17ROCPRIM_400000_NS6detail17trampoline_kernelINS0_14default_configENS1_27scan_by_key_config_selectorImiEEZZNS1_16scan_by_key_implILNS1_25lookback_scan_determinismE0ELb0ES3_N6thrust23THRUST_200600_302600_NS18transform_iteratorI9row_indexNS9_17counting_iteratorImNS9_11use_defaultESD_SD_EESD_SD_EENS9_6detail15normal_iteratorINS9_10device_ptrIiEEEESK_iNS9_4plusIvEENS9_8equal_toIvEEiEE10hipError_tPvRmT2_T3_T4_T5_mT6_T7_P12ihipStream_tbENKUlT_T0_E_clISt17integral_constantIbLb1EES14_IbLb0EEEEDaS10_S11_EUlS10_E_NS1_11comp_targetILNS1_3genE8ELNS1_11target_archE1030ELNS1_3gpuE2ELNS1_3repE0EEENS1_30default_config_static_selectorELNS0_4arch9wavefront6targetE1EEEvT1_
	.globl	_ZN7rocprim17ROCPRIM_400000_NS6detail17trampoline_kernelINS0_14default_configENS1_27scan_by_key_config_selectorImiEEZZNS1_16scan_by_key_implILNS1_25lookback_scan_determinismE0ELb0ES3_N6thrust23THRUST_200600_302600_NS18transform_iteratorI9row_indexNS9_17counting_iteratorImNS9_11use_defaultESD_SD_EESD_SD_EENS9_6detail15normal_iteratorINS9_10device_ptrIiEEEESK_iNS9_4plusIvEENS9_8equal_toIvEEiEE10hipError_tPvRmT2_T3_T4_T5_mT6_T7_P12ihipStream_tbENKUlT_T0_E_clISt17integral_constantIbLb1EES14_IbLb0EEEEDaS10_S11_EUlS10_E_NS1_11comp_targetILNS1_3genE8ELNS1_11target_archE1030ELNS1_3gpuE2ELNS1_3repE0EEENS1_30default_config_static_selectorELNS0_4arch9wavefront6targetE1EEEvT1_
	.p2align	8
	.type	_ZN7rocprim17ROCPRIM_400000_NS6detail17trampoline_kernelINS0_14default_configENS1_27scan_by_key_config_selectorImiEEZZNS1_16scan_by_key_implILNS1_25lookback_scan_determinismE0ELb0ES3_N6thrust23THRUST_200600_302600_NS18transform_iteratorI9row_indexNS9_17counting_iteratorImNS9_11use_defaultESD_SD_EESD_SD_EENS9_6detail15normal_iteratorINS9_10device_ptrIiEEEESK_iNS9_4plusIvEENS9_8equal_toIvEEiEE10hipError_tPvRmT2_T3_T4_T5_mT6_T7_P12ihipStream_tbENKUlT_T0_E_clISt17integral_constantIbLb1EES14_IbLb0EEEEDaS10_S11_EUlS10_E_NS1_11comp_targetILNS1_3genE8ELNS1_11target_archE1030ELNS1_3gpuE2ELNS1_3repE0EEENS1_30default_config_static_selectorELNS0_4arch9wavefront6targetE1EEEvT1_,@function
_ZN7rocprim17ROCPRIM_400000_NS6detail17trampoline_kernelINS0_14default_configENS1_27scan_by_key_config_selectorImiEEZZNS1_16scan_by_key_implILNS1_25lookback_scan_determinismE0ELb0ES3_N6thrust23THRUST_200600_302600_NS18transform_iteratorI9row_indexNS9_17counting_iteratorImNS9_11use_defaultESD_SD_EESD_SD_EENS9_6detail15normal_iteratorINS9_10device_ptrIiEEEESK_iNS9_4plusIvEENS9_8equal_toIvEEiEE10hipError_tPvRmT2_T3_T4_T5_mT6_T7_P12ihipStream_tbENKUlT_T0_E_clISt17integral_constantIbLb1EES14_IbLb0EEEEDaS10_S11_EUlS10_E_NS1_11comp_targetILNS1_3genE8ELNS1_11target_archE1030ELNS1_3gpuE2ELNS1_3repE0EEENS1_30default_config_static_selectorELNS0_4arch9wavefront6targetE1EEEvT1_: ; @_ZN7rocprim17ROCPRIM_400000_NS6detail17trampoline_kernelINS0_14default_configENS1_27scan_by_key_config_selectorImiEEZZNS1_16scan_by_key_implILNS1_25lookback_scan_determinismE0ELb0ES3_N6thrust23THRUST_200600_302600_NS18transform_iteratorI9row_indexNS9_17counting_iteratorImNS9_11use_defaultESD_SD_EESD_SD_EENS9_6detail15normal_iteratorINS9_10device_ptrIiEEEESK_iNS9_4plusIvEENS9_8equal_toIvEEiEE10hipError_tPvRmT2_T3_T4_T5_mT6_T7_P12ihipStream_tbENKUlT_T0_E_clISt17integral_constantIbLb1EES14_IbLb0EEEEDaS10_S11_EUlS10_E_NS1_11comp_targetILNS1_3genE8ELNS1_11target_archE1030ELNS1_3gpuE2ELNS1_3repE0EEENS1_30default_config_static_selectorELNS0_4arch9wavefront6targetE1EEEvT1_
; %bb.0:
	.section	.rodata,"a",@progbits
	.p2align	6, 0x0
	.amdhsa_kernel _ZN7rocprim17ROCPRIM_400000_NS6detail17trampoline_kernelINS0_14default_configENS1_27scan_by_key_config_selectorImiEEZZNS1_16scan_by_key_implILNS1_25lookback_scan_determinismE0ELb0ES3_N6thrust23THRUST_200600_302600_NS18transform_iteratorI9row_indexNS9_17counting_iteratorImNS9_11use_defaultESD_SD_EESD_SD_EENS9_6detail15normal_iteratorINS9_10device_ptrIiEEEESK_iNS9_4plusIvEENS9_8equal_toIvEEiEE10hipError_tPvRmT2_T3_T4_T5_mT6_T7_P12ihipStream_tbENKUlT_T0_E_clISt17integral_constantIbLb1EES14_IbLb0EEEEDaS10_S11_EUlS10_E_NS1_11comp_targetILNS1_3genE8ELNS1_11target_archE1030ELNS1_3gpuE2ELNS1_3repE0EEENS1_30default_config_static_selectorELNS0_4arch9wavefront6targetE1EEEvT1_
		.amdhsa_group_segment_fixed_size 0
		.amdhsa_private_segment_fixed_size 0
		.amdhsa_kernarg_size 120
		.amdhsa_user_sgpr_count 6
		.amdhsa_user_sgpr_private_segment_buffer 1
		.amdhsa_user_sgpr_dispatch_ptr 0
		.amdhsa_user_sgpr_queue_ptr 0
		.amdhsa_user_sgpr_kernarg_segment_ptr 1
		.amdhsa_user_sgpr_dispatch_id 0
		.amdhsa_user_sgpr_flat_scratch_init 0
		.amdhsa_user_sgpr_kernarg_preload_length 0
		.amdhsa_user_sgpr_kernarg_preload_offset 0
		.amdhsa_user_sgpr_private_segment_size 0
		.amdhsa_uses_dynamic_stack 0
		.amdhsa_system_sgpr_private_segment_wavefront_offset 0
		.amdhsa_system_sgpr_workgroup_id_x 1
		.amdhsa_system_sgpr_workgroup_id_y 0
		.amdhsa_system_sgpr_workgroup_id_z 0
		.amdhsa_system_sgpr_workgroup_info 0
		.amdhsa_system_vgpr_workitem_id 0
		.amdhsa_next_free_vgpr 1
		.amdhsa_next_free_sgpr 0
		.amdhsa_accum_offset 4
		.amdhsa_reserve_vcc 0
		.amdhsa_reserve_flat_scratch 0
		.amdhsa_float_round_mode_32 0
		.amdhsa_float_round_mode_16_64 0
		.amdhsa_float_denorm_mode_32 3
		.amdhsa_float_denorm_mode_16_64 3
		.amdhsa_dx10_clamp 1
		.amdhsa_ieee_mode 1
		.amdhsa_fp16_overflow 0
		.amdhsa_tg_split 0
		.amdhsa_exception_fp_ieee_invalid_op 0
		.amdhsa_exception_fp_denorm_src 0
		.amdhsa_exception_fp_ieee_div_zero 0
		.amdhsa_exception_fp_ieee_overflow 0
		.amdhsa_exception_fp_ieee_underflow 0
		.amdhsa_exception_fp_ieee_inexact 0
		.amdhsa_exception_int_div_zero 0
	.end_amdhsa_kernel
	.section	.text._ZN7rocprim17ROCPRIM_400000_NS6detail17trampoline_kernelINS0_14default_configENS1_27scan_by_key_config_selectorImiEEZZNS1_16scan_by_key_implILNS1_25lookback_scan_determinismE0ELb0ES3_N6thrust23THRUST_200600_302600_NS18transform_iteratorI9row_indexNS9_17counting_iteratorImNS9_11use_defaultESD_SD_EESD_SD_EENS9_6detail15normal_iteratorINS9_10device_ptrIiEEEESK_iNS9_4plusIvEENS9_8equal_toIvEEiEE10hipError_tPvRmT2_T3_T4_T5_mT6_T7_P12ihipStream_tbENKUlT_T0_E_clISt17integral_constantIbLb1EES14_IbLb0EEEEDaS10_S11_EUlS10_E_NS1_11comp_targetILNS1_3genE8ELNS1_11target_archE1030ELNS1_3gpuE2ELNS1_3repE0EEENS1_30default_config_static_selectorELNS0_4arch9wavefront6targetE1EEEvT1_,"axG",@progbits,_ZN7rocprim17ROCPRIM_400000_NS6detail17trampoline_kernelINS0_14default_configENS1_27scan_by_key_config_selectorImiEEZZNS1_16scan_by_key_implILNS1_25lookback_scan_determinismE0ELb0ES3_N6thrust23THRUST_200600_302600_NS18transform_iteratorI9row_indexNS9_17counting_iteratorImNS9_11use_defaultESD_SD_EESD_SD_EENS9_6detail15normal_iteratorINS9_10device_ptrIiEEEESK_iNS9_4plusIvEENS9_8equal_toIvEEiEE10hipError_tPvRmT2_T3_T4_T5_mT6_T7_P12ihipStream_tbENKUlT_T0_E_clISt17integral_constantIbLb1EES14_IbLb0EEEEDaS10_S11_EUlS10_E_NS1_11comp_targetILNS1_3genE8ELNS1_11target_archE1030ELNS1_3gpuE2ELNS1_3repE0EEENS1_30default_config_static_selectorELNS0_4arch9wavefront6targetE1EEEvT1_,comdat
.Lfunc_end33:
	.size	_ZN7rocprim17ROCPRIM_400000_NS6detail17trampoline_kernelINS0_14default_configENS1_27scan_by_key_config_selectorImiEEZZNS1_16scan_by_key_implILNS1_25lookback_scan_determinismE0ELb0ES3_N6thrust23THRUST_200600_302600_NS18transform_iteratorI9row_indexNS9_17counting_iteratorImNS9_11use_defaultESD_SD_EESD_SD_EENS9_6detail15normal_iteratorINS9_10device_ptrIiEEEESK_iNS9_4plusIvEENS9_8equal_toIvEEiEE10hipError_tPvRmT2_T3_T4_T5_mT6_T7_P12ihipStream_tbENKUlT_T0_E_clISt17integral_constantIbLb1EES14_IbLb0EEEEDaS10_S11_EUlS10_E_NS1_11comp_targetILNS1_3genE8ELNS1_11target_archE1030ELNS1_3gpuE2ELNS1_3repE0EEENS1_30default_config_static_selectorELNS0_4arch9wavefront6targetE1EEEvT1_, .Lfunc_end33-_ZN7rocprim17ROCPRIM_400000_NS6detail17trampoline_kernelINS0_14default_configENS1_27scan_by_key_config_selectorImiEEZZNS1_16scan_by_key_implILNS1_25lookback_scan_determinismE0ELb0ES3_N6thrust23THRUST_200600_302600_NS18transform_iteratorI9row_indexNS9_17counting_iteratorImNS9_11use_defaultESD_SD_EESD_SD_EENS9_6detail15normal_iteratorINS9_10device_ptrIiEEEESK_iNS9_4plusIvEENS9_8equal_toIvEEiEE10hipError_tPvRmT2_T3_T4_T5_mT6_T7_P12ihipStream_tbENKUlT_T0_E_clISt17integral_constantIbLb1EES14_IbLb0EEEEDaS10_S11_EUlS10_E_NS1_11comp_targetILNS1_3genE8ELNS1_11target_archE1030ELNS1_3gpuE2ELNS1_3repE0EEENS1_30default_config_static_selectorELNS0_4arch9wavefront6targetE1EEEvT1_
                                        ; -- End function
	.section	.AMDGPU.csdata,"",@progbits
; Kernel info:
; codeLenInByte = 0
; NumSgprs: 4
; NumVgprs: 0
; NumAgprs: 0
; TotalNumVgprs: 0
; ScratchSize: 0
; MemoryBound: 0
; FloatMode: 240
; IeeeMode: 1
; LDSByteSize: 0 bytes/workgroup (compile time only)
; SGPRBlocks: 0
; VGPRBlocks: 0
; NumSGPRsForWavesPerEU: 4
; NumVGPRsForWavesPerEU: 1
; AccumOffset: 4
; Occupancy: 8
; WaveLimiterHint : 0
; COMPUTE_PGM_RSRC2:SCRATCH_EN: 0
; COMPUTE_PGM_RSRC2:USER_SGPR: 6
; COMPUTE_PGM_RSRC2:TRAP_HANDLER: 0
; COMPUTE_PGM_RSRC2:TGID_X_EN: 1
; COMPUTE_PGM_RSRC2:TGID_Y_EN: 0
; COMPUTE_PGM_RSRC2:TGID_Z_EN: 0
; COMPUTE_PGM_RSRC2:TIDIG_COMP_CNT: 0
; COMPUTE_PGM_RSRC3_GFX90A:ACCUM_OFFSET: 0
; COMPUTE_PGM_RSRC3_GFX90A:TG_SPLIT: 0
	.section	.text._ZN7rocprim17ROCPRIM_400000_NS6detail30init_device_scan_by_key_kernelINS1_19lookback_scan_stateINS0_5tupleIJibEEELb0ELb1EEEN6thrust23THRUST_200600_302600_NS18transform_iteratorI9row_indexNS8_17counting_iteratorImNS8_11use_defaultESC_SC_EESC_SC_EEjNS1_16block_id_wrapperIjLb1EEEEEvT_jjPNSH_10value_typeET0_PNSt15iterator_traitsISK_E10value_typeEmT1_T2_,"axG",@progbits,_ZN7rocprim17ROCPRIM_400000_NS6detail30init_device_scan_by_key_kernelINS1_19lookback_scan_stateINS0_5tupleIJibEEELb0ELb1EEEN6thrust23THRUST_200600_302600_NS18transform_iteratorI9row_indexNS8_17counting_iteratorImNS8_11use_defaultESC_SC_EESC_SC_EEjNS1_16block_id_wrapperIjLb1EEEEEvT_jjPNSH_10value_typeET0_PNSt15iterator_traitsISK_E10value_typeEmT1_T2_,comdat
	.protected	_ZN7rocprim17ROCPRIM_400000_NS6detail30init_device_scan_by_key_kernelINS1_19lookback_scan_stateINS0_5tupleIJibEEELb0ELb1EEEN6thrust23THRUST_200600_302600_NS18transform_iteratorI9row_indexNS8_17counting_iteratorImNS8_11use_defaultESC_SC_EESC_SC_EEjNS1_16block_id_wrapperIjLb1EEEEEvT_jjPNSH_10value_typeET0_PNSt15iterator_traitsISK_E10value_typeEmT1_T2_ ; -- Begin function _ZN7rocprim17ROCPRIM_400000_NS6detail30init_device_scan_by_key_kernelINS1_19lookback_scan_stateINS0_5tupleIJibEEELb0ELb1EEEN6thrust23THRUST_200600_302600_NS18transform_iteratorI9row_indexNS8_17counting_iteratorImNS8_11use_defaultESC_SC_EESC_SC_EEjNS1_16block_id_wrapperIjLb1EEEEEvT_jjPNSH_10value_typeET0_PNSt15iterator_traitsISK_E10value_typeEmT1_T2_
	.globl	_ZN7rocprim17ROCPRIM_400000_NS6detail30init_device_scan_by_key_kernelINS1_19lookback_scan_stateINS0_5tupleIJibEEELb0ELb1EEEN6thrust23THRUST_200600_302600_NS18transform_iteratorI9row_indexNS8_17counting_iteratorImNS8_11use_defaultESC_SC_EESC_SC_EEjNS1_16block_id_wrapperIjLb1EEEEEvT_jjPNSH_10value_typeET0_PNSt15iterator_traitsISK_E10value_typeEmT1_T2_
	.p2align	8
	.type	_ZN7rocprim17ROCPRIM_400000_NS6detail30init_device_scan_by_key_kernelINS1_19lookback_scan_stateINS0_5tupleIJibEEELb0ELb1EEEN6thrust23THRUST_200600_302600_NS18transform_iteratorI9row_indexNS8_17counting_iteratorImNS8_11use_defaultESC_SC_EESC_SC_EEjNS1_16block_id_wrapperIjLb1EEEEEvT_jjPNSH_10value_typeET0_PNSt15iterator_traitsISK_E10value_typeEmT1_T2_,@function
_ZN7rocprim17ROCPRIM_400000_NS6detail30init_device_scan_by_key_kernelINS1_19lookback_scan_stateINS0_5tupleIJibEEELb0ELb1EEEN6thrust23THRUST_200600_302600_NS18transform_iteratorI9row_indexNS8_17counting_iteratorImNS8_11use_defaultESC_SC_EESC_SC_EEjNS1_16block_id_wrapperIjLb1EEEEEvT_jjPNSH_10value_typeET0_PNSt15iterator_traitsISK_E10value_typeEmT1_T2_: ; @_ZN7rocprim17ROCPRIM_400000_NS6detail30init_device_scan_by_key_kernelINS1_19lookback_scan_stateINS0_5tupleIJibEEELb0ELb1EEEN6thrust23THRUST_200600_302600_NS18transform_iteratorI9row_indexNS8_17counting_iteratorImNS8_11use_defaultESC_SC_EESC_SC_EEjNS1_16block_id_wrapperIjLb1EEEEEvT_jjPNSH_10value_typeET0_PNSt15iterator_traitsISK_E10value_typeEmT1_T2_
; %bb.0:
	s_load_dword s0, s[4:5], 0x54
	s_load_dwordx8 s[8:15], s[4:5], 0x0
	s_load_dword s18, s[4:5], 0x48
	s_waitcnt lgkmcnt(0)
	s_and_b32 s19, s0, 0xffff
	s_mul_i32 s6, s6, s19
	s_cmp_eq_u64 s[12:13], 0
	v_add_u32_e32 v4, s6, v0
	s_cbranch_scc1 .LBB34_8
; %bb.1:
	s_cmp_lt_u32 s11, s10
	s_cselect_b32 s0, s11, 0
	s_mov_b32 s3, 0
	v_cmp_eq_u32_e32 vcc, s0, v4
	s_and_saveexec_b64 s[0:1], vcc
	s_cbranch_execz .LBB34_7
; %bb.2:
	s_add_i32 s2, s11, 64
	s_lshl_b64 s[2:3], s[2:3], 4
	s_add_u32 s16, s8, s2
	s_addc_u32 s17, s9, s3
	v_pk_mov_b32 v[0:1], s[16:17], s[16:17] op_sel:[0,1]
	;;#ASMSTART
	global_load_dwordx4 v[0:3], v[0:1] off glc	
s_waitcnt vmcnt(0)
	;;#ASMEND
	v_mov_b32_e32 v7, 0
	v_and_b32_e32 v6, 0xff, v2
	s_mov_b64 s[6:7], 0
	v_cmp_eq_u64_e32 vcc, 0, v[6:7]
	s_and_saveexec_b64 s[2:3], vcc
	s_cbranch_execz .LBB34_6
; %bb.3:
	v_pk_mov_b32 v[8:9], s[16:17], s[16:17] op_sel:[0,1]
.LBB34_4:                               ; =>This Inner Loop Header: Depth=1
	;;#ASMSTART
	global_load_dwordx4 v[0:3], v[8:9] off glc	
s_waitcnt vmcnt(0)
	;;#ASMEND
	v_and_b32_e32 v6, 0xff, v2
	v_cmp_ne_u64_e32 vcc, 0, v[6:7]
	s_or_b64 s[6:7], vcc, s[6:7]
	s_andn2_b64 exec, exec, s[6:7]
	s_cbranch_execnz .LBB34_4
; %bb.5:
	s_or_b64 exec, exec, s[6:7]
.LBB34_6:
	s_or_b64 exec, exec, s[2:3]
	v_mov_b32_e32 v2, 0
	global_store_dword v2, v0, s[12:13]
	global_store_byte v2, v1, s[12:13] offset:4
.LBB34_7:
	s_or_b64 exec, exec, s[0:1]
.LBB34_8:
	v_cmp_eq_u32_e32 vcc, 0, v4
	s_and_saveexec_b64 s[0:1], vcc
	s_cbranch_execz .LBB34_10
; %bb.9:
	s_load_dwordx2 s[2:3], s[4:5], 0x40
	v_mov_b32_e32 v0, 0
	s_waitcnt lgkmcnt(0)
	global_store_dword v0, v0, s[2:3]
.LBB34_10:
	s_or_b64 exec, exec, s[0:1]
	v_cmp_gt_u32_e32 vcc, s10, v4
	s_and_saveexec_b64 s[0:1], vcc
	s_cbranch_execz .LBB34_12
; %bb.11:
	v_add_u32_e32 v0, 64, v4
	v_mov_b32_e32 v1, 0
	v_lshlrev_b64 v[2:3], 4, v[0:1]
	v_mov_b32_e32 v0, s9
	v_add_co_u32_e32 v6, vcc, s8, v2
	v_addc_co_u32_e32 v7, vcc, v0, v3, vcc
	v_mov_b32_e32 v0, v1
	v_mov_b32_e32 v2, v1
	;; [unrolled: 1-line block ×3, first 2 shown]
	global_store_dwordx4 v[6:7], v[0:3], off
.LBB34_12:
	s_or_b64 exec, exec, s[0:1]
	v_cmp_gt_u32_e32 vcc, 64, v4
	v_mov_b32_e32 v5, 0
	s_and_saveexec_b64 s[0:1], vcc
	s_cbranch_execz .LBB34_14
; %bb.13:
	v_lshlrev_b64 v[0:1], 4, v[4:5]
	v_mov_b32_e32 v2, s9
	v_add_co_u32_e32 v6, vcc, s8, v0
	v_addc_co_u32_e32 v7, vcc, v2, v1, vcc
	v_mov_b32_e32 v2, 0xff
	v_mov_b32_e32 v0, v5
	;; [unrolled: 1-line block ×4, first 2 shown]
	global_store_dwordx4 v[6:7], v[0:3], off
.LBB34_14:
	s_or_b64 exec, exec, s[0:1]
	s_load_dwordx2 s[2:3], s[4:5], 0x30
	s_waitcnt lgkmcnt(0)
	v_cmp_gt_u64_e32 vcc, s[2:3], v[4:5]
	s_and_saveexec_b64 s[0:1], vcc
	s_cbranch_execz .LBB34_21
; %bb.15:
	s_load_dword s6, s[4:5], 0x38
	s_load_dwordx4 s[8:11], s[4:5], 0x20
	v_lshlrev_b64 v[2:3], 3, v[4:5]
	s_mul_i32 s4, s18, s19
	s_mov_b32 s5, 0
	s_waitcnt lgkmcnt(0)
	s_add_i32 s0, s6, -1
	v_cvt_f32_u32_e32 v6, s8
	v_cvt_f32_u32_e32 v7, s9
	v_mov_b32_e32 v8, s11
	v_add_co_u32_e32 v2, vcc, s10, v2
	v_madmk_f32 v6, v7, 0x4f800000, v6
	v_rcp_f32_e32 v6, v6
	v_cvt_f32_u32_e32 v7, s8
	v_addc_co_u32_e32 v3, vcc, v8, v3, vcc
	v_mul_f32_e32 v6, 0x5f7ffffc, v6
	v_rcp_iflag_f32_e32 v7, v7
	v_mul_f32_e32 v8, 0x2f800000, v6
	v_trunc_f32_e32 v8, v8
	v_madmk_f32 v6, v8, 0xcf800000, v6
	v_cvt_u32_f32_e32 v10, v6
	v_mul_f32_e32 v6, 0x4f7ffffe, v7
	s_add_u32 s0, s0, s14
	v_cvt_u32_f32_e32 v11, v8
	v_cvt_u32_f32_e32 v12, v6
	s_addc_u32 s1, 0, s15
	v_pk_mov_b32 v[0:1], s[0:1], s[0:1] op_sel:[0,1]
	v_mad_u64_u32 v[0:1], s[0:1], s6, v4, v[0:1]
	s_mul_hi_u32 s14, s6, s4
	s_mul_i32 s15, s6, s4
	s_lshl_b64 s[6:7], s[4:5], 3
	s_mov_b64 s[10:11], 0
	v_mov_b32_e32 v6, 0
	s_branch .LBB34_17
.LBB34_16:                              ;   in Loop: Header=BB34_17 Depth=1
	s_or_b64 exec, exec, s[0:1]
	v_mov_b32_e32 v7, s5
	v_add_co_u32_e32 v4, vcc, s4, v4
	v_addc_co_u32_e32 v5, vcc, v5, v7, vcc
	v_mov_b32_e32 v7, s14
	v_add_co_u32_e32 v0, vcc, s15, v0
	v_addc_co_u32_e32 v1, vcc, v1, v7, vcc
	v_cmp_le_u64_e32 vcc, s[2:3], v[4:5]
	global_store_dwordx2 v[2:3], v[8:9], off
	v_mov_b32_e32 v7, s7
	s_or_b64 s[10:11], vcc, s[10:11]
	v_add_co_u32_e32 v2, vcc, s6, v2
	v_addc_co_u32_e32 v3, vcc, v3, v7, vcc
	s_andn2_b64 exec, exec, s[10:11]
	s_cbranch_execz .LBB34_21
.LBB34_17:                              ; =>This Inner Loop Header: Depth=1
	v_or_b32_e32 v7, s9, v1
	v_cmp_ne_u64_e32 vcc, 0, v[6:7]
                                        ; implicit-def: $vgpr8_vgpr9
	s_and_saveexec_b64 s[0:1], vcc
	s_xor_b64 s[12:13], exec, s[0:1]
	s_cbranch_execz .LBB34_19
; %bb.18:                               ;   in Loop: Header=BB34_17 Depth=1
	s_sub_u32 s0, 0, s8
	s_subb_u32 s1, 0, s9
	v_mul_hi_u32 v8, s0, v10
	v_mul_lo_u32 v9, s0, v11
	v_mul_lo_u32 v7, s1, v10
	v_add_u32_e32 v8, v8, v9
	v_add_u32_e32 v7, v8, v7
	v_mul_lo_u32 v13, s0, v10
	v_mul_lo_u32 v9, v10, v7
	v_mul_hi_u32 v14, v10, v13
	v_mul_hi_u32 v8, v10, v7
	v_add_co_u32_e32 v9, vcc, v14, v9
	v_addc_co_u32_e32 v8, vcc, 0, v8, vcc
	v_mul_hi_u32 v15, v11, v13
	v_mul_lo_u32 v13, v11, v13
	v_add_co_u32_e32 v9, vcc, v9, v13
	v_mul_hi_u32 v14, v11, v7
	v_addc_co_u32_e32 v8, vcc, v8, v15, vcc
	v_addc_co_u32_e32 v9, vcc, 0, v14, vcc
	v_mul_lo_u32 v7, v11, v7
	v_add_co_u32_e32 v7, vcc, v8, v7
	v_addc_co_u32_e32 v8, vcc, 0, v9, vcc
	v_add_co_u32_e32 v7, vcc, v10, v7
	v_addc_co_u32_e32 v8, vcc, v11, v8, vcc
	v_mul_lo_u32 v9, s0, v8
	v_mul_hi_u32 v13, s0, v7
	v_add_u32_e32 v9, v13, v9
	v_mul_lo_u32 v13, s1, v7
	v_add_u32_e32 v9, v9, v13
	v_mul_lo_u32 v14, s0, v7
	v_mul_hi_u32 v15, v8, v14
	v_mul_lo_u32 v16, v8, v14
	v_mul_lo_u32 v18, v7, v9
	v_mul_hi_u32 v14, v7, v14
	v_mul_hi_u32 v17, v7, v9
	v_add_co_u32_e32 v14, vcc, v14, v18
	v_addc_co_u32_e32 v17, vcc, 0, v17, vcc
	v_add_co_u32_e32 v14, vcc, v14, v16
	v_mul_hi_u32 v13, v8, v9
	v_addc_co_u32_e32 v14, vcc, v17, v15, vcc
	v_addc_co_u32_e32 v13, vcc, 0, v13, vcc
	v_mul_lo_u32 v9, v8, v9
	v_add_co_u32_e32 v9, vcc, v14, v9
	v_addc_co_u32_e32 v13, vcc, 0, v13, vcc
	v_add_co_u32_e32 v7, vcc, v7, v9
	v_addc_co_u32_e32 v13, vcc, v8, v13, vcc
	v_mad_u64_u32 v[8:9], s[0:1], v0, v13, 0
	v_mul_hi_u32 v14, v0, v7
	v_add_co_u32_e32 v16, vcc, v14, v8
	v_addc_co_u32_e32 v17, vcc, 0, v9, vcc
	v_mad_u64_u32 v[14:15], s[0:1], v1, v7, 0
	v_add_co_u32_e32 v7, vcc, v16, v14
	v_mad_u64_u32 v[8:9], s[0:1], v1, v13, 0
	v_addc_co_u32_e32 v7, vcc, v17, v15, vcc
	v_addc_co_u32_e32 v9, vcc, 0, v9, vcc
	v_add_co_u32_e32 v7, vcc, v7, v8
	v_addc_co_u32_e32 v13, vcc, 0, v9, vcc
	v_mul_lo_u32 v14, s9, v7
	v_mul_lo_u32 v15, s8, v13
	v_mad_u64_u32 v[8:9], s[0:1], s8, v7, 0
	v_add3_u32 v9, v9, v15, v14
	v_sub_u32_e32 v14, v1, v9
	v_mov_b32_e32 v15, s9
	v_sub_co_u32_e32 v8, vcc, v0, v8
	v_subb_co_u32_e64 v14, s[0:1], v14, v15, vcc
	v_subrev_co_u32_e64 v15, s[0:1], s8, v8
	v_subbrev_co_u32_e64 v14, s[0:1], 0, v14, s[0:1]
	v_cmp_le_u32_e64 s[0:1], s9, v14
	v_cndmask_b32_e64 v16, 0, -1, s[0:1]
	v_cmp_le_u32_e64 s[0:1], s8, v15
	v_cndmask_b32_e64 v15, 0, -1, s[0:1]
	v_cmp_eq_u32_e64 s[0:1], s9, v14
	v_cndmask_b32_e64 v14, v16, v15, s[0:1]
	v_add_co_u32_e64 v15, s[0:1], 2, v7
	v_addc_co_u32_e64 v16, s[0:1], 0, v13, s[0:1]
	v_add_co_u32_e64 v17, s[0:1], 1, v7
	v_addc_co_u32_e64 v18, s[0:1], 0, v13, s[0:1]
	v_subb_co_u32_e32 v9, vcc, v1, v9, vcc
	v_cmp_ne_u32_e64 s[0:1], 0, v14
	v_cmp_le_u32_e32 vcc, s9, v9
	v_cndmask_b32_e64 v14, v18, v16, s[0:1]
	v_cndmask_b32_e64 v16, 0, -1, vcc
	v_cmp_le_u32_e32 vcc, s8, v8
	v_cndmask_b32_e64 v8, 0, -1, vcc
	v_cmp_eq_u32_e32 vcc, s9, v9
	v_cndmask_b32_e32 v8, v16, v8, vcc
	v_cmp_ne_u32_e32 vcc, 0, v8
	v_cndmask_b32_e64 v8, v17, v15, s[0:1]
	v_cndmask_b32_e32 v9, v13, v14, vcc
	v_cndmask_b32_e32 v8, v7, v8, vcc
.LBB34_19:                              ;   in Loop: Header=BB34_17 Depth=1
	s_andn2_saveexec_b64 s[0:1], s[12:13]
	s_cbranch_execz .LBB34_16
; %bb.20:                               ;   in Loop: Header=BB34_17 Depth=1
	s_sub_i32 s12, 0, s8
	v_mul_lo_u32 v7, s12, v12
	v_mul_hi_u32 v7, v12, v7
	v_add_u32_e32 v7, v12, v7
	v_mul_hi_u32 v7, v0, v7
	v_mul_lo_u32 v8, v7, s8
	v_sub_u32_e32 v8, v0, v8
	v_subrev_u32_e32 v9, s8, v8
	v_cmp_le_u32_e32 vcc, s8, v8
	v_cndmask_b32_e32 v8, v8, v9, vcc
	v_add_u32_e32 v9, 1, v7
	v_cndmask_b32_e32 v7, v7, v9, vcc
	v_add_u32_e32 v9, 1, v7
	v_cmp_le_u32_e32 vcc, s8, v8
	v_cndmask_b32_e32 v8, v7, v9, vcc
	v_mov_b32_e32 v9, v6
	s_branch .LBB34_16
.LBB34_21:
	s_endpgm
	.section	.rodata,"a",@progbits
	.p2align	6, 0x0
	.amdhsa_kernel _ZN7rocprim17ROCPRIM_400000_NS6detail30init_device_scan_by_key_kernelINS1_19lookback_scan_stateINS0_5tupleIJibEEELb0ELb1EEEN6thrust23THRUST_200600_302600_NS18transform_iteratorI9row_indexNS8_17counting_iteratorImNS8_11use_defaultESC_SC_EESC_SC_EEjNS1_16block_id_wrapperIjLb1EEEEEvT_jjPNSH_10value_typeET0_PNSt15iterator_traitsISK_E10value_typeEmT1_T2_
		.amdhsa_group_segment_fixed_size 0
		.amdhsa_private_segment_fixed_size 0
		.amdhsa_kernarg_size 328
		.amdhsa_user_sgpr_count 6
		.amdhsa_user_sgpr_private_segment_buffer 1
		.amdhsa_user_sgpr_dispatch_ptr 0
		.amdhsa_user_sgpr_queue_ptr 0
		.amdhsa_user_sgpr_kernarg_segment_ptr 1
		.amdhsa_user_sgpr_dispatch_id 0
		.amdhsa_user_sgpr_flat_scratch_init 0
		.amdhsa_user_sgpr_kernarg_preload_length 0
		.amdhsa_user_sgpr_kernarg_preload_offset 0
		.amdhsa_user_sgpr_private_segment_size 0
		.amdhsa_uses_dynamic_stack 0
		.amdhsa_system_sgpr_private_segment_wavefront_offset 0
		.amdhsa_system_sgpr_workgroup_id_x 1
		.amdhsa_system_sgpr_workgroup_id_y 0
		.amdhsa_system_sgpr_workgroup_id_z 0
		.amdhsa_system_sgpr_workgroup_info 0
		.amdhsa_system_vgpr_workitem_id 0
		.amdhsa_next_free_vgpr 19
		.amdhsa_next_free_sgpr 20
		.amdhsa_accum_offset 20
		.amdhsa_reserve_vcc 1
		.amdhsa_reserve_flat_scratch 0
		.amdhsa_float_round_mode_32 0
		.amdhsa_float_round_mode_16_64 0
		.amdhsa_float_denorm_mode_32 3
		.amdhsa_float_denorm_mode_16_64 3
		.amdhsa_dx10_clamp 1
		.amdhsa_ieee_mode 1
		.amdhsa_fp16_overflow 0
		.amdhsa_tg_split 0
		.amdhsa_exception_fp_ieee_invalid_op 0
		.amdhsa_exception_fp_denorm_src 0
		.amdhsa_exception_fp_ieee_div_zero 0
		.amdhsa_exception_fp_ieee_overflow 0
		.amdhsa_exception_fp_ieee_underflow 0
		.amdhsa_exception_fp_ieee_inexact 0
		.amdhsa_exception_int_div_zero 0
	.end_amdhsa_kernel
	.section	.text._ZN7rocprim17ROCPRIM_400000_NS6detail30init_device_scan_by_key_kernelINS1_19lookback_scan_stateINS0_5tupleIJibEEELb0ELb1EEEN6thrust23THRUST_200600_302600_NS18transform_iteratorI9row_indexNS8_17counting_iteratorImNS8_11use_defaultESC_SC_EESC_SC_EEjNS1_16block_id_wrapperIjLb1EEEEEvT_jjPNSH_10value_typeET0_PNSt15iterator_traitsISK_E10value_typeEmT1_T2_,"axG",@progbits,_ZN7rocprim17ROCPRIM_400000_NS6detail30init_device_scan_by_key_kernelINS1_19lookback_scan_stateINS0_5tupleIJibEEELb0ELb1EEEN6thrust23THRUST_200600_302600_NS18transform_iteratorI9row_indexNS8_17counting_iteratorImNS8_11use_defaultESC_SC_EESC_SC_EEjNS1_16block_id_wrapperIjLb1EEEEEvT_jjPNSH_10value_typeET0_PNSt15iterator_traitsISK_E10value_typeEmT1_T2_,comdat
.Lfunc_end34:
	.size	_ZN7rocprim17ROCPRIM_400000_NS6detail30init_device_scan_by_key_kernelINS1_19lookback_scan_stateINS0_5tupleIJibEEELb0ELb1EEEN6thrust23THRUST_200600_302600_NS18transform_iteratorI9row_indexNS8_17counting_iteratorImNS8_11use_defaultESC_SC_EESC_SC_EEjNS1_16block_id_wrapperIjLb1EEEEEvT_jjPNSH_10value_typeET0_PNSt15iterator_traitsISK_E10value_typeEmT1_T2_, .Lfunc_end34-_ZN7rocprim17ROCPRIM_400000_NS6detail30init_device_scan_by_key_kernelINS1_19lookback_scan_stateINS0_5tupleIJibEEELb0ELb1EEEN6thrust23THRUST_200600_302600_NS18transform_iteratorI9row_indexNS8_17counting_iteratorImNS8_11use_defaultESC_SC_EESC_SC_EEjNS1_16block_id_wrapperIjLb1EEEEEvT_jjPNSH_10value_typeET0_PNSt15iterator_traitsISK_E10value_typeEmT1_T2_
                                        ; -- End function
	.section	.AMDGPU.csdata,"",@progbits
; Kernel info:
; codeLenInByte = 1336
; NumSgprs: 24
; NumVgprs: 19
; NumAgprs: 0
; TotalNumVgprs: 19
; ScratchSize: 0
; MemoryBound: 0
; FloatMode: 240
; IeeeMode: 1
; LDSByteSize: 0 bytes/workgroup (compile time only)
; SGPRBlocks: 2
; VGPRBlocks: 2
; NumSGPRsForWavesPerEU: 24
; NumVGPRsForWavesPerEU: 19
; AccumOffset: 20
; Occupancy: 8
; WaveLimiterHint : 0
; COMPUTE_PGM_RSRC2:SCRATCH_EN: 0
; COMPUTE_PGM_RSRC2:USER_SGPR: 6
; COMPUTE_PGM_RSRC2:TRAP_HANDLER: 0
; COMPUTE_PGM_RSRC2:TGID_X_EN: 1
; COMPUTE_PGM_RSRC2:TGID_Y_EN: 0
; COMPUTE_PGM_RSRC2:TGID_Z_EN: 0
; COMPUTE_PGM_RSRC2:TIDIG_COMP_CNT: 0
; COMPUTE_PGM_RSRC3_GFX90A:ACCUM_OFFSET: 4
; COMPUTE_PGM_RSRC3_GFX90A:TG_SPLIT: 0
	.section	.text._ZN7rocprim17ROCPRIM_400000_NS6detail30init_device_scan_by_key_kernelINS1_19lookback_scan_stateINS0_5tupleIJibEEELb0ELb1EEENS1_16block_id_wrapperIjLb1EEEEEvT_jjPNS9_10value_typeET0_,"axG",@progbits,_ZN7rocprim17ROCPRIM_400000_NS6detail30init_device_scan_by_key_kernelINS1_19lookback_scan_stateINS0_5tupleIJibEEELb0ELb1EEENS1_16block_id_wrapperIjLb1EEEEEvT_jjPNS9_10value_typeET0_,comdat
	.protected	_ZN7rocprim17ROCPRIM_400000_NS6detail30init_device_scan_by_key_kernelINS1_19lookback_scan_stateINS0_5tupleIJibEEELb0ELb1EEENS1_16block_id_wrapperIjLb1EEEEEvT_jjPNS9_10value_typeET0_ ; -- Begin function _ZN7rocprim17ROCPRIM_400000_NS6detail30init_device_scan_by_key_kernelINS1_19lookback_scan_stateINS0_5tupleIJibEEELb0ELb1EEENS1_16block_id_wrapperIjLb1EEEEEvT_jjPNS9_10value_typeET0_
	.globl	_ZN7rocprim17ROCPRIM_400000_NS6detail30init_device_scan_by_key_kernelINS1_19lookback_scan_stateINS0_5tupleIJibEEELb0ELb1EEENS1_16block_id_wrapperIjLb1EEEEEvT_jjPNS9_10value_typeET0_
	.p2align	8
	.type	_ZN7rocprim17ROCPRIM_400000_NS6detail30init_device_scan_by_key_kernelINS1_19lookback_scan_stateINS0_5tupleIJibEEELb0ELb1EEENS1_16block_id_wrapperIjLb1EEEEEvT_jjPNS9_10value_typeET0_,@function
_ZN7rocprim17ROCPRIM_400000_NS6detail30init_device_scan_by_key_kernelINS1_19lookback_scan_stateINS0_5tupleIJibEEELb0ELb1EEENS1_16block_id_wrapperIjLb1EEEEEvT_jjPNS9_10value_typeET0_: ; @_ZN7rocprim17ROCPRIM_400000_NS6detail30init_device_scan_by_key_kernelINS1_19lookback_scan_stateINS0_5tupleIJibEEELb0ELb1EEENS1_16block_id_wrapperIjLb1EEEEEvT_jjPNS9_10value_typeET0_
; %bb.0:
	s_load_dword s0, s[4:5], 0x2c
	s_load_dwordx8 s[8:15], s[4:5], 0x0
	s_waitcnt lgkmcnt(0)
	s_and_b32 s0, s0, 0xffff
	s_mul_i32 s6, s6, s0
	s_cmp_eq_u64 s[12:13], 0
	v_add_u32_e32 v0, s6, v0
	s_cbranch_scc1 .LBB35_8
; %bb.1:
	s_cmp_lt_u32 s11, s10
	s_cselect_b32 s0, s11, 0
	s_mov_b32 s3, 0
	v_cmp_eq_u32_e32 vcc, s0, v0
	s_and_saveexec_b64 s[0:1], vcc
	s_cbranch_execz .LBB35_7
; %bb.2:
	s_add_i32 s2, s11, 64
	s_lshl_b64 s[2:3], s[2:3], 4
	s_add_u32 s6, s8, s2
	s_addc_u32 s7, s9, s3
	v_pk_mov_b32 v[2:3], s[6:7], s[6:7] op_sel:[0,1]
	;;#ASMSTART
	global_load_dwordx4 v[2:5], v[2:3] off glc	
s_waitcnt vmcnt(0)
	;;#ASMEND
	v_mov_b32_e32 v7, 0
	v_and_b32_e32 v6, 0xff, v4
	s_mov_b64 s[4:5], 0
	v_cmp_eq_u64_e32 vcc, 0, v[6:7]
	s_and_saveexec_b64 s[2:3], vcc
	s_cbranch_execz .LBB35_6
; %bb.3:
	v_pk_mov_b32 v[8:9], s[6:7], s[6:7] op_sel:[0,1]
.LBB35_4:                               ; =>This Inner Loop Header: Depth=1
	;;#ASMSTART
	global_load_dwordx4 v[2:5], v[8:9] off glc	
s_waitcnt vmcnt(0)
	;;#ASMEND
	v_and_b32_e32 v6, 0xff, v4
	v_cmp_ne_u64_e32 vcc, 0, v[6:7]
	s_or_b64 s[4:5], vcc, s[4:5]
	s_andn2_b64 exec, exec, s[4:5]
	s_cbranch_execnz .LBB35_4
; %bb.5:
	s_or_b64 exec, exec, s[4:5]
.LBB35_6:
	s_or_b64 exec, exec, s[2:3]
	v_mov_b32_e32 v1, 0
	global_store_dword v1, v2, s[12:13]
	global_store_byte v1, v3, s[12:13] offset:4
.LBB35_7:
	s_or_b64 exec, exec, s[0:1]
.LBB35_8:
	v_cmp_eq_u32_e32 vcc, 0, v0
	s_and_saveexec_b64 s[0:1], vcc
	s_cbranch_execnz .LBB35_12
; %bb.9:
	s_or_b64 exec, exec, s[0:1]
	v_cmp_gt_u32_e32 vcc, s10, v0
	s_and_saveexec_b64 s[0:1], vcc
	s_cbranch_execnz .LBB35_13
.LBB35_10:
	s_or_b64 exec, exec, s[0:1]
	v_cmp_gt_u32_e32 vcc, 64, v0
	s_and_saveexec_b64 s[0:1], vcc
	s_cbranch_execnz .LBB35_14
.LBB35_11:
	s_endpgm
.LBB35_12:
	v_mov_b32_e32 v1, 0
	global_store_dword v1, v1, s[14:15]
	s_or_b64 exec, exec, s[0:1]
	v_cmp_gt_u32_e32 vcc, s10, v0
	s_and_saveexec_b64 s[0:1], vcc
	s_cbranch_execz .LBB35_10
.LBB35_13:
	v_add_u32_e32 v2, 64, v0
	v_mov_b32_e32 v3, 0
	v_lshlrev_b64 v[4:5], 4, v[2:3]
	v_mov_b32_e32 v1, s9
	v_add_co_u32_e32 v6, vcc, s8, v4
	v_addc_co_u32_e32 v7, vcc, v1, v5, vcc
	v_mov_b32_e32 v2, v3
	v_mov_b32_e32 v4, v3
	;; [unrolled: 1-line block ×3, first 2 shown]
	global_store_dwordx4 v[6:7], v[2:5], off
	s_or_b64 exec, exec, s[0:1]
	v_cmp_gt_u32_e32 vcc, 64, v0
	s_and_saveexec_b64 s[0:1], vcc
	s_cbranch_execz .LBB35_11
.LBB35_14:
	v_mov_b32_e32 v1, 0
	v_lshlrev_b64 v[2:3], 4, v[0:1]
	v_mov_b32_e32 v0, s9
	v_add_co_u32_e32 v4, vcc, s8, v2
	v_addc_co_u32_e32 v5, vcc, v0, v3, vcc
	v_mov_b32_e32 v2, 0xff
	v_mov_b32_e32 v0, v1
	;; [unrolled: 1-line block ×3, first 2 shown]
	global_store_dwordx4 v[4:5], v[0:3], off
	s_endpgm
	.section	.rodata,"a",@progbits
	.p2align	6, 0x0
	.amdhsa_kernel _ZN7rocprim17ROCPRIM_400000_NS6detail30init_device_scan_by_key_kernelINS1_19lookback_scan_stateINS0_5tupleIJibEEELb0ELb1EEENS1_16block_id_wrapperIjLb1EEEEEvT_jjPNS9_10value_typeET0_
		.amdhsa_group_segment_fixed_size 0
		.amdhsa_private_segment_fixed_size 0
		.amdhsa_kernarg_size 288
		.amdhsa_user_sgpr_count 6
		.amdhsa_user_sgpr_private_segment_buffer 1
		.amdhsa_user_sgpr_dispatch_ptr 0
		.amdhsa_user_sgpr_queue_ptr 0
		.amdhsa_user_sgpr_kernarg_segment_ptr 1
		.amdhsa_user_sgpr_dispatch_id 0
		.amdhsa_user_sgpr_flat_scratch_init 0
		.amdhsa_user_sgpr_kernarg_preload_length 0
		.amdhsa_user_sgpr_kernarg_preload_offset 0
		.amdhsa_user_sgpr_private_segment_size 0
		.amdhsa_uses_dynamic_stack 0
		.amdhsa_system_sgpr_private_segment_wavefront_offset 0
		.amdhsa_system_sgpr_workgroup_id_x 1
		.amdhsa_system_sgpr_workgroup_id_y 0
		.amdhsa_system_sgpr_workgroup_id_z 0
		.amdhsa_system_sgpr_workgroup_info 0
		.amdhsa_system_vgpr_workitem_id 0
		.amdhsa_next_free_vgpr 10
		.amdhsa_next_free_sgpr 16
		.amdhsa_accum_offset 12
		.amdhsa_reserve_vcc 1
		.amdhsa_reserve_flat_scratch 0
		.amdhsa_float_round_mode_32 0
		.amdhsa_float_round_mode_16_64 0
		.amdhsa_float_denorm_mode_32 3
		.amdhsa_float_denorm_mode_16_64 3
		.amdhsa_dx10_clamp 1
		.amdhsa_ieee_mode 1
		.amdhsa_fp16_overflow 0
		.amdhsa_tg_split 0
		.amdhsa_exception_fp_ieee_invalid_op 0
		.amdhsa_exception_fp_denorm_src 0
		.amdhsa_exception_fp_ieee_div_zero 0
		.amdhsa_exception_fp_ieee_overflow 0
		.amdhsa_exception_fp_ieee_underflow 0
		.amdhsa_exception_fp_ieee_inexact 0
		.amdhsa_exception_int_div_zero 0
	.end_amdhsa_kernel
	.section	.text._ZN7rocprim17ROCPRIM_400000_NS6detail30init_device_scan_by_key_kernelINS1_19lookback_scan_stateINS0_5tupleIJibEEELb0ELb1EEENS1_16block_id_wrapperIjLb1EEEEEvT_jjPNS9_10value_typeET0_,"axG",@progbits,_ZN7rocprim17ROCPRIM_400000_NS6detail30init_device_scan_by_key_kernelINS1_19lookback_scan_stateINS0_5tupleIJibEEELb0ELb1EEENS1_16block_id_wrapperIjLb1EEEEEvT_jjPNS9_10value_typeET0_,comdat
.Lfunc_end35:
	.size	_ZN7rocprim17ROCPRIM_400000_NS6detail30init_device_scan_by_key_kernelINS1_19lookback_scan_stateINS0_5tupleIJibEEELb0ELb1EEENS1_16block_id_wrapperIjLb1EEEEEvT_jjPNS9_10value_typeET0_, .Lfunc_end35-_ZN7rocprim17ROCPRIM_400000_NS6detail30init_device_scan_by_key_kernelINS1_19lookback_scan_stateINS0_5tupleIJibEEELb0ELb1EEENS1_16block_id_wrapperIjLb1EEEEEvT_jjPNS9_10value_typeET0_
                                        ; -- End function
	.section	.AMDGPU.csdata,"",@progbits
; Kernel info:
; codeLenInByte = 408
; NumSgprs: 20
; NumVgprs: 10
; NumAgprs: 0
; TotalNumVgprs: 10
; ScratchSize: 0
; MemoryBound: 0
; FloatMode: 240
; IeeeMode: 1
; LDSByteSize: 0 bytes/workgroup (compile time only)
; SGPRBlocks: 2
; VGPRBlocks: 1
; NumSGPRsForWavesPerEU: 20
; NumVGPRsForWavesPerEU: 10
; AccumOffset: 12
; Occupancy: 8
; WaveLimiterHint : 0
; COMPUTE_PGM_RSRC2:SCRATCH_EN: 0
; COMPUTE_PGM_RSRC2:USER_SGPR: 6
; COMPUTE_PGM_RSRC2:TRAP_HANDLER: 0
; COMPUTE_PGM_RSRC2:TGID_X_EN: 1
; COMPUTE_PGM_RSRC2:TGID_Y_EN: 0
; COMPUTE_PGM_RSRC2:TGID_Z_EN: 0
; COMPUTE_PGM_RSRC2:TIDIG_COMP_CNT: 0
; COMPUTE_PGM_RSRC3_GFX90A:ACCUM_OFFSET: 2
; COMPUTE_PGM_RSRC3_GFX90A:TG_SPLIT: 0
	.section	.text._ZN7rocprim17ROCPRIM_400000_NS6detail17trampoline_kernelINS0_14default_configENS1_27scan_by_key_config_selectorImiEEZZNS1_16scan_by_key_implILNS1_25lookback_scan_determinismE0ELb0ES3_N6thrust23THRUST_200600_302600_NS18transform_iteratorI9row_indexNS9_17counting_iteratorImNS9_11use_defaultESD_SD_EESD_SD_EENS9_6detail15normal_iteratorINS9_10device_ptrIiEEEESK_iNS9_4plusIvEENS9_8equal_toIvEEiEE10hipError_tPvRmT2_T3_T4_T5_mT6_T7_P12ihipStream_tbENKUlT_T0_E_clISt17integral_constantIbLb0EES14_IbLb1EEEEDaS10_S11_EUlS10_E_NS1_11comp_targetILNS1_3genE0ELNS1_11target_archE4294967295ELNS1_3gpuE0ELNS1_3repE0EEENS1_30default_config_static_selectorELNS0_4arch9wavefront6targetE1EEEvT1_,"axG",@progbits,_ZN7rocprim17ROCPRIM_400000_NS6detail17trampoline_kernelINS0_14default_configENS1_27scan_by_key_config_selectorImiEEZZNS1_16scan_by_key_implILNS1_25lookback_scan_determinismE0ELb0ES3_N6thrust23THRUST_200600_302600_NS18transform_iteratorI9row_indexNS9_17counting_iteratorImNS9_11use_defaultESD_SD_EESD_SD_EENS9_6detail15normal_iteratorINS9_10device_ptrIiEEEESK_iNS9_4plusIvEENS9_8equal_toIvEEiEE10hipError_tPvRmT2_T3_T4_T5_mT6_T7_P12ihipStream_tbENKUlT_T0_E_clISt17integral_constantIbLb0EES14_IbLb1EEEEDaS10_S11_EUlS10_E_NS1_11comp_targetILNS1_3genE0ELNS1_11target_archE4294967295ELNS1_3gpuE0ELNS1_3repE0EEENS1_30default_config_static_selectorELNS0_4arch9wavefront6targetE1EEEvT1_,comdat
	.protected	_ZN7rocprim17ROCPRIM_400000_NS6detail17trampoline_kernelINS0_14default_configENS1_27scan_by_key_config_selectorImiEEZZNS1_16scan_by_key_implILNS1_25lookback_scan_determinismE0ELb0ES3_N6thrust23THRUST_200600_302600_NS18transform_iteratorI9row_indexNS9_17counting_iteratorImNS9_11use_defaultESD_SD_EESD_SD_EENS9_6detail15normal_iteratorINS9_10device_ptrIiEEEESK_iNS9_4plusIvEENS9_8equal_toIvEEiEE10hipError_tPvRmT2_T3_T4_T5_mT6_T7_P12ihipStream_tbENKUlT_T0_E_clISt17integral_constantIbLb0EES14_IbLb1EEEEDaS10_S11_EUlS10_E_NS1_11comp_targetILNS1_3genE0ELNS1_11target_archE4294967295ELNS1_3gpuE0ELNS1_3repE0EEENS1_30default_config_static_selectorELNS0_4arch9wavefront6targetE1EEEvT1_ ; -- Begin function _ZN7rocprim17ROCPRIM_400000_NS6detail17trampoline_kernelINS0_14default_configENS1_27scan_by_key_config_selectorImiEEZZNS1_16scan_by_key_implILNS1_25lookback_scan_determinismE0ELb0ES3_N6thrust23THRUST_200600_302600_NS18transform_iteratorI9row_indexNS9_17counting_iteratorImNS9_11use_defaultESD_SD_EESD_SD_EENS9_6detail15normal_iteratorINS9_10device_ptrIiEEEESK_iNS9_4plusIvEENS9_8equal_toIvEEiEE10hipError_tPvRmT2_T3_T4_T5_mT6_T7_P12ihipStream_tbENKUlT_T0_E_clISt17integral_constantIbLb0EES14_IbLb1EEEEDaS10_S11_EUlS10_E_NS1_11comp_targetILNS1_3genE0ELNS1_11target_archE4294967295ELNS1_3gpuE0ELNS1_3repE0EEENS1_30default_config_static_selectorELNS0_4arch9wavefront6targetE1EEEvT1_
	.globl	_ZN7rocprim17ROCPRIM_400000_NS6detail17trampoline_kernelINS0_14default_configENS1_27scan_by_key_config_selectorImiEEZZNS1_16scan_by_key_implILNS1_25lookback_scan_determinismE0ELb0ES3_N6thrust23THRUST_200600_302600_NS18transform_iteratorI9row_indexNS9_17counting_iteratorImNS9_11use_defaultESD_SD_EESD_SD_EENS9_6detail15normal_iteratorINS9_10device_ptrIiEEEESK_iNS9_4plusIvEENS9_8equal_toIvEEiEE10hipError_tPvRmT2_T3_T4_T5_mT6_T7_P12ihipStream_tbENKUlT_T0_E_clISt17integral_constantIbLb0EES14_IbLb1EEEEDaS10_S11_EUlS10_E_NS1_11comp_targetILNS1_3genE0ELNS1_11target_archE4294967295ELNS1_3gpuE0ELNS1_3repE0EEENS1_30default_config_static_selectorELNS0_4arch9wavefront6targetE1EEEvT1_
	.p2align	8
	.type	_ZN7rocprim17ROCPRIM_400000_NS6detail17trampoline_kernelINS0_14default_configENS1_27scan_by_key_config_selectorImiEEZZNS1_16scan_by_key_implILNS1_25lookback_scan_determinismE0ELb0ES3_N6thrust23THRUST_200600_302600_NS18transform_iteratorI9row_indexNS9_17counting_iteratorImNS9_11use_defaultESD_SD_EESD_SD_EENS9_6detail15normal_iteratorINS9_10device_ptrIiEEEESK_iNS9_4plusIvEENS9_8equal_toIvEEiEE10hipError_tPvRmT2_T3_T4_T5_mT6_T7_P12ihipStream_tbENKUlT_T0_E_clISt17integral_constantIbLb0EES14_IbLb1EEEEDaS10_S11_EUlS10_E_NS1_11comp_targetILNS1_3genE0ELNS1_11target_archE4294967295ELNS1_3gpuE0ELNS1_3repE0EEENS1_30default_config_static_selectorELNS0_4arch9wavefront6targetE1EEEvT1_,@function
_ZN7rocprim17ROCPRIM_400000_NS6detail17trampoline_kernelINS0_14default_configENS1_27scan_by_key_config_selectorImiEEZZNS1_16scan_by_key_implILNS1_25lookback_scan_determinismE0ELb0ES3_N6thrust23THRUST_200600_302600_NS18transform_iteratorI9row_indexNS9_17counting_iteratorImNS9_11use_defaultESD_SD_EESD_SD_EENS9_6detail15normal_iteratorINS9_10device_ptrIiEEEESK_iNS9_4plusIvEENS9_8equal_toIvEEiEE10hipError_tPvRmT2_T3_T4_T5_mT6_T7_P12ihipStream_tbENKUlT_T0_E_clISt17integral_constantIbLb0EES14_IbLb1EEEEDaS10_S11_EUlS10_E_NS1_11comp_targetILNS1_3genE0ELNS1_11target_archE4294967295ELNS1_3gpuE0ELNS1_3repE0EEENS1_30default_config_static_selectorELNS0_4arch9wavefront6targetE1EEEvT1_: ; @_ZN7rocprim17ROCPRIM_400000_NS6detail17trampoline_kernelINS0_14default_configENS1_27scan_by_key_config_selectorImiEEZZNS1_16scan_by_key_implILNS1_25lookback_scan_determinismE0ELb0ES3_N6thrust23THRUST_200600_302600_NS18transform_iteratorI9row_indexNS9_17counting_iteratorImNS9_11use_defaultESD_SD_EESD_SD_EENS9_6detail15normal_iteratorINS9_10device_ptrIiEEEESK_iNS9_4plusIvEENS9_8equal_toIvEEiEE10hipError_tPvRmT2_T3_T4_T5_mT6_T7_P12ihipStream_tbENKUlT_T0_E_clISt17integral_constantIbLb0EES14_IbLb1EEEEDaS10_S11_EUlS10_E_NS1_11comp_targetILNS1_3genE0ELNS1_11target_archE4294967295ELNS1_3gpuE0ELNS1_3repE0EEENS1_30default_config_static_selectorELNS0_4arch9wavefront6targetE1EEEvT1_
; %bb.0:
	.section	.rodata,"a",@progbits
	.p2align	6, 0x0
	.amdhsa_kernel _ZN7rocprim17ROCPRIM_400000_NS6detail17trampoline_kernelINS0_14default_configENS1_27scan_by_key_config_selectorImiEEZZNS1_16scan_by_key_implILNS1_25lookback_scan_determinismE0ELb0ES3_N6thrust23THRUST_200600_302600_NS18transform_iteratorI9row_indexNS9_17counting_iteratorImNS9_11use_defaultESD_SD_EESD_SD_EENS9_6detail15normal_iteratorINS9_10device_ptrIiEEEESK_iNS9_4plusIvEENS9_8equal_toIvEEiEE10hipError_tPvRmT2_T3_T4_T5_mT6_T7_P12ihipStream_tbENKUlT_T0_E_clISt17integral_constantIbLb0EES14_IbLb1EEEEDaS10_S11_EUlS10_E_NS1_11comp_targetILNS1_3genE0ELNS1_11target_archE4294967295ELNS1_3gpuE0ELNS1_3repE0EEENS1_30default_config_static_selectorELNS0_4arch9wavefront6targetE1EEEvT1_
		.amdhsa_group_segment_fixed_size 0
		.amdhsa_private_segment_fixed_size 0
		.amdhsa_kernarg_size 120
		.amdhsa_user_sgpr_count 6
		.amdhsa_user_sgpr_private_segment_buffer 1
		.amdhsa_user_sgpr_dispatch_ptr 0
		.amdhsa_user_sgpr_queue_ptr 0
		.amdhsa_user_sgpr_kernarg_segment_ptr 1
		.amdhsa_user_sgpr_dispatch_id 0
		.amdhsa_user_sgpr_flat_scratch_init 0
		.amdhsa_user_sgpr_kernarg_preload_length 0
		.amdhsa_user_sgpr_kernarg_preload_offset 0
		.amdhsa_user_sgpr_private_segment_size 0
		.amdhsa_uses_dynamic_stack 0
		.amdhsa_system_sgpr_private_segment_wavefront_offset 0
		.amdhsa_system_sgpr_workgroup_id_x 1
		.amdhsa_system_sgpr_workgroup_id_y 0
		.amdhsa_system_sgpr_workgroup_id_z 0
		.amdhsa_system_sgpr_workgroup_info 0
		.amdhsa_system_vgpr_workitem_id 0
		.amdhsa_next_free_vgpr 1
		.amdhsa_next_free_sgpr 0
		.amdhsa_accum_offset 4
		.amdhsa_reserve_vcc 0
		.amdhsa_reserve_flat_scratch 0
		.amdhsa_float_round_mode_32 0
		.amdhsa_float_round_mode_16_64 0
		.amdhsa_float_denorm_mode_32 3
		.amdhsa_float_denorm_mode_16_64 3
		.amdhsa_dx10_clamp 1
		.amdhsa_ieee_mode 1
		.amdhsa_fp16_overflow 0
		.amdhsa_tg_split 0
		.amdhsa_exception_fp_ieee_invalid_op 0
		.amdhsa_exception_fp_denorm_src 0
		.amdhsa_exception_fp_ieee_div_zero 0
		.amdhsa_exception_fp_ieee_overflow 0
		.amdhsa_exception_fp_ieee_underflow 0
		.amdhsa_exception_fp_ieee_inexact 0
		.amdhsa_exception_int_div_zero 0
	.end_amdhsa_kernel
	.section	.text._ZN7rocprim17ROCPRIM_400000_NS6detail17trampoline_kernelINS0_14default_configENS1_27scan_by_key_config_selectorImiEEZZNS1_16scan_by_key_implILNS1_25lookback_scan_determinismE0ELb0ES3_N6thrust23THRUST_200600_302600_NS18transform_iteratorI9row_indexNS9_17counting_iteratorImNS9_11use_defaultESD_SD_EESD_SD_EENS9_6detail15normal_iteratorINS9_10device_ptrIiEEEESK_iNS9_4plusIvEENS9_8equal_toIvEEiEE10hipError_tPvRmT2_T3_T4_T5_mT6_T7_P12ihipStream_tbENKUlT_T0_E_clISt17integral_constantIbLb0EES14_IbLb1EEEEDaS10_S11_EUlS10_E_NS1_11comp_targetILNS1_3genE0ELNS1_11target_archE4294967295ELNS1_3gpuE0ELNS1_3repE0EEENS1_30default_config_static_selectorELNS0_4arch9wavefront6targetE1EEEvT1_,"axG",@progbits,_ZN7rocprim17ROCPRIM_400000_NS6detail17trampoline_kernelINS0_14default_configENS1_27scan_by_key_config_selectorImiEEZZNS1_16scan_by_key_implILNS1_25lookback_scan_determinismE0ELb0ES3_N6thrust23THRUST_200600_302600_NS18transform_iteratorI9row_indexNS9_17counting_iteratorImNS9_11use_defaultESD_SD_EESD_SD_EENS9_6detail15normal_iteratorINS9_10device_ptrIiEEEESK_iNS9_4plusIvEENS9_8equal_toIvEEiEE10hipError_tPvRmT2_T3_T4_T5_mT6_T7_P12ihipStream_tbENKUlT_T0_E_clISt17integral_constantIbLb0EES14_IbLb1EEEEDaS10_S11_EUlS10_E_NS1_11comp_targetILNS1_3genE0ELNS1_11target_archE4294967295ELNS1_3gpuE0ELNS1_3repE0EEENS1_30default_config_static_selectorELNS0_4arch9wavefront6targetE1EEEvT1_,comdat
.Lfunc_end36:
	.size	_ZN7rocprim17ROCPRIM_400000_NS6detail17trampoline_kernelINS0_14default_configENS1_27scan_by_key_config_selectorImiEEZZNS1_16scan_by_key_implILNS1_25lookback_scan_determinismE0ELb0ES3_N6thrust23THRUST_200600_302600_NS18transform_iteratorI9row_indexNS9_17counting_iteratorImNS9_11use_defaultESD_SD_EESD_SD_EENS9_6detail15normal_iteratorINS9_10device_ptrIiEEEESK_iNS9_4plusIvEENS9_8equal_toIvEEiEE10hipError_tPvRmT2_T3_T4_T5_mT6_T7_P12ihipStream_tbENKUlT_T0_E_clISt17integral_constantIbLb0EES14_IbLb1EEEEDaS10_S11_EUlS10_E_NS1_11comp_targetILNS1_3genE0ELNS1_11target_archE4294967295ELNS1_3gpuE0ELNS1_3repE0EEENS1_30default_config_static_selectorELNS0_4arch9wavefront6targetE1EEEvT1_, .Lfunc_end36-_ZN7rocprim17ROCPRIM_400000_NS6detail17trampoline_kernelINS0_14default_configENS1_27scan_by_key_config_selectorImiEEZZNS1_16scan_by_key_implILNS1_25lookback_scan_determinismE0ELb0ES3_N6thrust23THRUST_200600_302600_NS18transform_iteratorI9row_indexNS9_17counting_iteratorImNS9_11use_defaultESD_SD_EESD_SD_EENS9_6detail15normal_iteratorINS9_10device_ptrIiEEEESK_iNS9_4plusIvEENS9_8equal_toIvEEiEE10hipError_tPvRmT2_T3_T4_T5_mT6_T7_P12ihipStream_tbENKUlT_T0_E_clISt17integral_constantIbLb0EES14_IbLb1EEEEDaS10_S11_EUlS10_E_NS1_11comp_targetILNS1_3genE0ELNS1_11target_archE4294967295ELNS1_3gpuE0ELNS1_3repE0EEENS1_30default_config_static_selectorELNS0_4arch9wavefront6targetE1EEEvT1_
                                        ; -- End function
	.section	.AMDGPU.csdata,"",@progbits
; Kernel info:
; codeLenInByte = 0
; NumSgprs: 4
; NumVgprs: 0
; NumAgprs: 0
; TotalNumVgprs: 0
; ScratchSize: 0
; MemoryBound: 0
; FloatMode: 240
; IeeeMode: 1
; LDSByteSize: 0 bytes/workgroup (compile time only)
; SGPRBlocks: 0
; VGPRBlocks: 0
; NumSGPRsForWavesPerEU: 4
; NumVGPRsForWavesPerEU: 1
; AccumOffset: 4
; Occupancy: 8
; WaveLimiterHint : 0
; COMPUTE_PGM_RSRC2:SCRATCH_EN: 0
; COMPUTE_PGM_RSRC2:USER_SGPR: 6
; COMPUTE_PGM_RSRC2:TRAP_HANDLER: 0
; COMPUTE_PGM_RSRC2:TGID_X_EN: 1
; COMPUTE_PGM_RSRC2:TGID_Y_EN: 0
; COMPUTE_PGM_RSRC2:TGID_Z_EN: 0
; COMPUTE_PGM_RSRC2:TIDIG_COMP_CNT: 0
; COMPUTE_PGM_RSRC3_GFX90A:ACCUM_OFFSET: 0
; COMPUTE_PGM_RSRC3_GFX90A:TG_SPLIT: 0
	.section	.text._ZN7rocprim17ROCPRIM_400000_NS6detail17trampoline_kernelINS0_14default_configENS1_27scan_by_key_config_selectorImiEEZZNS1_16scan_by_key_implILNS1_25lookback_scan_determinismE0ELb0ES3_N6thrust23THRUST_200600_302600_NS18transform_iteratorI9row_indexNS9_17counting_iteratorImNS9_11use_defaultESD_SD_EESD_SD_EENS9_6detail15normal_iteratorINS9_10device_ptrIiEEEESK_iNS9_4plusIvEENS9_8equal_toIvEEiEE10hipError_tPvRmT2_T3_T4_T5_mT6_T7_P12ihipStream_tbENKUlT_T0_E_clISt17integral_constantIbLb0EES14_IbLb1EEEEDaS10_S11_EUlS10_E_NS1_11comp_targetILNS1_3genE10ELNS1_11target_archE1201ELNS1_3gpuE5ELNS1_3repE0EEENS1_30default_config_static_selectorELNS0_4arch9wavefront6targetE1EEEvT1_,"axG",@progbits,_ZN7rocprim17ROCPRIM_400000_NS6detail17trampoline_kernelINS0_14default_configENS1_27scan_by_key_config_selectorImiEEZZNS1_16scan_by_key_implILNS1_25lookback_scan_determinismE0ELb0ES3_N6thrust23THRUST_200600_302600_NS18transform_iteratorI9row_indexNS9_17counting_iteratorImNS9_11use_defaultESD_SD_EESD_SD_EENS9_6detail15normal_iteratorINS9_10device_ptrIiEEEESK_iNS9_4plusIvEENS9_8equal_toIvEEiEE10hipError_tPvRmT2_T3_T4_T5_mT6_T7_P12ihipStream_tbENKUlT_T0_E_clISt17integral_constantIbLb0EES14_IbLb1EEEEDaS10_S11_EUlS10_E_NS1_11comp_targetILNS1_3genE10ELNS1_11target_archE1201ELNS1_3gpuE5ELNS1_3repE0EEENS1_30default_config_static_selectorELNS0_4arch9wavefront6targetE1EEEvT1_,comdat
	.protected	_ZN7rocprim17ROCPRIM_400000_NS6detail17trampoline_kernelINS0_14default_configENS1_27scan_by_key_config_selectorImiEEZZNS1_16scan_by_key_implILNS1_25lookback_scan_determinismE0ELb0ES3_N6thrust23THRUST_200600_302600_NS18transform_iteratorI9row_indexNS9_17counting_iteratorImNS9_11use_defaultESD_SD_EESD_SD_EENS9_6detail15normal_iteratorINS9_10device_ptrIiEEEESK_iNS9_4plusIvEENS9_8equal_toIvEEiEE10hipError_tPvRmT2_T3_T4_T5_mT6_T7_P12ihipStream_tbENKUlT_T0_E_clISt17integral_constantIbLb0EES14_IbLb1EEEEDaS10_S11_EUlS10_E_NS1_11comp_targetILNS1_3genE10ELNS1_11target_archE1201ELNS1_3gpuE5ELNS1_3repE0EEENS1_30default_config_static_selectorELNS0_4arch9wavefront6targetE1EEEvT1_ ; -- Begin function _ZN7rocprim17ROCPRIM_400000_NS6detail17trampoline_kernelINS0_14default_configENS1_27scan_by_key_config_selectorImiEEZZNS1_16scan_by_key_implILNS1_25lookback_scan_determinismE0ELb0ES3_N6thrust23THRUST_200600_302600_NS18transform_iteratorI9row_indexNS9_17counting_iteratorImNS9_11use_defaultESD_SD_EESD_SD_EENS9_6detail15normal_iteratorINS9_10device_ptrIiEEEESK_iNS9_4plusIvEENS9_8equal_toIvEEiEE10hipError_tPvRmT2_T3_T4_T5_mT6_T7_P12ihipStream_tbENKUlT_T0_E_clISt17integral_constantIbLb0EES14_IbLb1EEEEDaS10_S11_EUlS10_E_NS1_11comp_targetILNS1_3genE10ELNS1_11target_archE1201ELNS1_3gpuE5ELNS1_3repE0EEENS1_30default_config_static_selectorELNS0_4arch9wavefront6targetE1EEEvT1_
	.globl	_ZN7rocprim17ROCPRIM_400000_NS6detail17trampoline_kernelINS0_14default_configENS1_27scan_by_key_config_selectorImiEEZZNS1_16scan_by_key_implILNS1_25lookback_scan_determinismE0ELb0ES3_N6thrust23THRUST_200600_302600_NS18transform_iteratorI9row_indexNS9_17counting_iteratorImNS9_11use_defaultESD_SD_EESD_SD_EENS9_6detail15normal_iteratorINS9_10device_ptrIiEEEESK_iNS9_4plusIvEENS9_8equal_toIvEEiEE10hipError_tPvRmT2_T3_T4_T5_mT6_T7_P12ihipStream_tbENKUlT_T0_E_clISt17integral_constantIbLb0EES14_IbLb1EEEEDaS10_S11_EUlS10_E_NS1_11comp_targetILNS1_3genE10ELNS1_11target_archE1201ELNS1_3gpuE5ELNS1_3repE0EEENS1_30default_config_static_selectorELNS0_4arch9wavefront6targetE1EEEvT1_
	.p2align	8
	.type	_ZN7rocprim17ROCPRIM_400000_NS6detail17trampoline_kernelINS0_14default_configENS1_27scan_by_key_config_selectorImiEEZZNS1_16scan_by_key_implILNS1_25lookback_scan_determinismE0ELb0ES3_N6thrust23THRUST_200600_302600_NS18transform_iteratorI9row_indexNS9_17counting_iteratorImNS9_11use_defaultESD_SD_EESD_SD_EENS9_6detail15normal_iteratorINS9_10device_ptrIiEEEESK_iNS9_4plusIvEENS9_8equal_toIvEEiEE10hipError_tPvRmT2_T3_T4_T5_mT6_T7_P12ihipStream_tbENKUlT_T0_E_clISt17integral_constantIbLb0EES14_IbLb1EEEEDaS10_S11_EUlS10_E_NS1_11comp_targetILNS1_3genE10ELNS1_11target_archE1201ELNS1_3gpuE5ELNS1_3repE0EEENS1_30default_config_static_selectorELNS0_4arch9wavefront6targetE1EEEvT1_,@function
_ZN7rocprim17ROCPRIM_400000_NS6detail17trampoline_kernelINS0_14default_configENS1_27scan_by_key_config_selectorImiEEZZNS1_16scan_by_key_implILNS1_25lookback_scan_determinismE0ELb0ES3_N6thrust23THRUST_200600_302600_NS18transform_iteratorI9row_indexNS9_17counting_iteratorImNS9_11use_defaultESD_SD_EESD_SD_EENS9_6detail15normal_iteratorINS9_10device_ptrIiEEEESK_iNS9_4plusIvEENS9_8equal_toIvEEiEE10hipError_tPvRmT2_T3_T4_T5_mT6_T7_P12ihipStream_tbENKUlT_T0_E_clISt17integral_constantIbLb0EES14_IbLb1EEEEDaS10_S11_EUlS10_E_NS1_11comp_targetILNS1_3genE10ELNS1_11target_archE1201ELNS1_3gpuE5ELNS1_3repE0EEENS1_30default_config_static_selectorELNS0_4arch9wavefront6targetE1EEEvT1_: ; @_ZN7rocprim17ROCPRIM_400000_NS6detail17trampoline_kernelINS0_14default_configENS1_27scan_by_key_config_selectorImiEEZZNS1_16scan_by_key_implILNS1_25lookback_scan_determinismE0ELb0ES3_N6thrust23THRUST_200600_302600_NS18transform_iteratorI9row_indexNS9_17counting_iteratorImNS9_11use_defaultESD_SD_EESD_SD_EENS9_6detail15normal_iteratorINS9_10device_ptrIiEEEESK_iNS9_4plusIvEENS9_8equal_toIvEEiEE10hipError_tPvRmT2_T3_T4_T5_mT6_T7_P12ihipStream_tbENKUlT_T0_E_clISt17integral_constantIbLb0EES14_IbLb1EEEEDaS10_S11_EUlS10_E_NS1_11comp_targetILNS1_3genE10ELNS1_11target_archE1201ELNS1_3gpuE5ELNS1_3repE0EEENS1_30default_config_static_selectorELNS0_4arch9wavefront6targetE1EEEvT1_
; %bb.0:
	.section	.rodata,"a",@progbits
	.p2align	6, 0x0
	.amdhsa_kernel _ZN7rocprim17ROCPRIM_400000_NS6detail17trampoline_kernelINS0_14default_configENS1_27scan_by_key_config_selectorImiEEZZNS1_16scan_by_key_implILNS1_25lookback_scan_determinismE0ELb0ES3_N6thrust23THRUST_200600_302600_NS18transform_iteratorI9row_indexNS9_17counting_iteratorImNS9_11use_defaultESD_SD_EESD_SD_EENS9_6detail15normal_iteratorINS9_10device_ptrIiEEEESK_iNS9_4plusIvEENS9_8equal_toIvEEiEE10hipError_tPvRmT2_T3_T4_T5_mT6_T7_P12ihipStream_tbENKUlT_T0_E_clISt17integral_constantIbLb0EES14_IbLb1EEEEDaS10_S11_EUlS10_E_NS1_11comp_targetILNS1_3genE10ELNS1_11target_archE1201ELNS1_3gpuE5ELNS1_3repE0EEENS1_30default_config_static_selectorELNS0_4arch9wavefront6targetE1EEEvT1_
		.amdhsa_group_segment_fixed_size 0
		.amdhsa_private_segment_fixed_size 0
		.amdhsa_kernarg_size 120
		.amdhsa_user_sgpr_count 6
		.amdhsa_user_sgpr_private_segment_buffer 1
		.amdhsa_user_sgpr_dispatch_ptr 0
		.amdhsa_user_sgpr_queue_ptr 0
		.amdhsa_user_sgpr_kernarg_segment_ptr 1
		.amdhsa_user_sgpr_dispatch_id 0
		.amdhsa_user_sgpr_flat_scratch_init 0
		.amdhsa_user_sgpr_kernarg_preload_length 0
		.amdhsa_user_sgpr_kernarg_preload_offset 0
		.amdhsa_user_sgpr_private_segment_size 0
		.amdhsa_uses_dynamic_stack 0
		.amdhsa_system_sgpr_private_segment_wavefront_offset 0
		.amdhsa_system_sgpr_workgroup_id_x 1
		.amdhsa_system_sgpr_workgroup_id_y 0
		.amdhsa_system_sgpr_workgroup_id_z 0
		.amdhsa_system_sgpr_workgroup_info 0
		.amdhsa_system_vgpr_workitem_id 0
		.amdhsa_next_free_vgpr 1
		.amdhsa_next_free_sgpr 0
		.amdhsa_accum_offset 4
		.amdhsa_reserve_vcc 0
		.amdhsa_reserve_flat_scratch 0
		.amdhsa_float_round_mode_32 0
		.amdhsa_float_round_mode_16_64 0
		.amdhsa_float_denorm_mode_32 3
		.amdhsa_float_denorm_mode_16_64 3
		.amdhsa_dx10_clamp 1
		.amdhsa_ieee_mode 1
		.amdhsa_fp16_overflow 0
		.amdhsa_tg_split 0
		.amdhsa_exception_fp_ieee_invalid_op 0
		.amdhsa_exception_fp_denorm_src 0
		.amdhsa_exception_fp_ieee_div_zero 0
		.amdhsa_exception_fp_ieee_overflow 0
		.amdhsa_exception_fp_ieee_underflow 0
		.amdhsa_exception_fp_ieee_inexact 0
		.amdhsa_exception_int_div_zero 0
	.end_amdhsa_kernel
	.section	.text._ZN7rocprim17ROCPRIM_400000_NS6detail17trampoline_kernelINS0_14default_configENS1_27scan_by_key_config_selectorImiEEZZNS1_16scan_by_key_implILNS1_25lookback_scan_determinismE0ELb0ES3_N6thrust23THRUST_200600_302600_NS18transform_iteratorI9row_indexNS9_17counting_iteratorImNS9_11use_defaultESD_SD_EESD_SD_EENS9_6detail15normal_iteratorINS9_10device_ptrIiEEEESK_iNS9_4plusIvEENS9_8equal_toIvEEiEE10hipError_tPvRmT2_T3_T4_T5_mT6_T7_P12ihipStream_tbENKUlT_T0_E_clISt17integral_constantIbLb0EES14_IbLb1EEEEDaS10_S11_EUlS10_E_NS1_11comp_targetILNS1_3genE10ELNS1_11target_archE1201ELNS1_3gpuE5ELNS1_3repE0EEENS1_30default_config_static_selectorELNS0_4arch9wavefront6targetE1EEEvT1_,"axG",@progbits,_ZN7rocprim17ROCPRIM_400000_NS6detail17trampoline_kernelINS0_14default_configENS1_27scan_by_key_config_selectorImiEEZZNS1_16scan_by_key_implILNS1_25lookback_scan_determinismE0ELb0ES3_N6thrust23THRUST_200600_302600_NS18transform_iteratorI9row_indexNS9_17counting_iteratorImNS9_11use_defaultESD_SD_EESD_SD_EENS9_6detail15normal_iteratorINS9_10device_ptrIiEEEESK_iNS9_4plusIvEENS9_8equal_toIvEEiEE10hipError_tPvRmT2_T3_T4_T5_mT6_T7_P12ihipStream_tbENKUlT_T0_E_clISt17integral_constantIbLb0EES14_IbLb1EEEEDaS10_S11_EUlS10_E_NS1_11comp_targetILNS1_3genE10ELNS1_11target_archE1201ELNS1_3gpuE5ELNS1_3repE0EEENS1_30default_config_static_selectorELNS0_4arch9wavefront6targetE1EEEvT1_,comdat
.Lfunc_end37:
	.size	_ZN7rocprim17ROCPRIM_400000_NS6detail17trampoline_kernelINS0_14default_configENS1_27scan_by_key_config_selectorImiEEZZNS1_16scan_by_key_implILNS1_25lookback_scan_determinismE0ELb0ES3_N6thrust23THRUST_200600_302600_NS18transform_iteratorI9row_indexNS9_17counting_iteratorImNS9_11use_defaultESD_SD_EESD_SD_EENS9_6detail15normal_iteratorINS9_10device_ptrIiEEEESK_iNS9_4plusIvEENS9_8equal_toIvEEiEE10hipError_tPvRmT2_T3_T4_T5_mT6_T7_P12ihipStream_tbENKUlT_T0_E_clISt17integral_constantIbLb0EES14_IbLb1EEEEDaS10_S11_EUlS10_E_NS1_11comp_targetILNS1_3genE10ELNS1_11target_archE1201ELNS1_3gpuE5ELNS1_3repE0EEENS1_30default_config_static_selectorELNS0_4arch9wavefront6targetE1EEEvT1_, .Lfunc_end37-_ZN7rocprim17ROCPRIM_400000_NS6detail17trampoline_kernelINS0_14default_configENS1_27scan_by_key_config_selectorImiEEZZNS1_16scan_by_key_implILNS1_25lookback_scan_determinismE0ELb0ES3_N6thrust23THRUST_200600_302600_NS18transform_iteratorI9row_indexNS9_17counting_iteratorImNS9_11use_defaultESD_SD_EESD_SD_EENS9_6detail15normal_iteratorINS9_10device_ptrIiEEEESK_iNS9_4plusIvEENS9_8equal_toIvEEiEE10hipError_tPvRmT2_T3_T4_T5_mT6_T7_P12ihipStream_tbENKUlT_T0_E_clISt17integral_constantIbLb0EES14_IbLb1EEEEDaS10_S11_EUlS10_E_NS1_11comp_targetILNS1_3genE10ELNS1_11target_archE1201ELNS1_3gpuE5ELNS1_3repE0EEENS1_30default_config_static_selectorELNS0_4arch9wavefront6targetE1EEEvT1_
                                        ; -- End function
	.section	.AMDGPU.csdata,"",@progbits
; Kernel info:
; codeLenInByte = 0
; NumSgprs: 4
; NumVgprs: 0
; NumAgprs: 0
; TotalNumVgprs: 0
; ScratchSize: 0
; MemoryBound: 0
; FloatMode: 240
; IeeeMode: 1
; LDSByteSize: 0 bytes/workgroup (compile time only)
; SGPRBlocks: 0
; VGPRBlocks: 0
; NumSGPRsForWavesPerEU: 4
; NumVGPRsForWavesPerEU: 1
; AccumOffset: 4
; Occupancy: 8
; WaveLimiterHint : 0
; COMPUTE_PGM_RSRC2:SCRATCH_EN: 0
; COMPUTE_PGM_RSRC2:USER_SGPR: 6
; COMPUTE_PGM_RSRC2:TRAP_HANDLER: 0
; COMPUTE_PGM_RSRC2:TGID_X_EN: 1
; COMPUTE_PGM_RSRC2:TGID_Y_EN: 0
; COMPUTE_PGM_RSRC2:TGID_Z_EN: 0
; COMPUTE_PGM_RSRC2:TIDIG_COMP_CNT: 0
; COMPUTE_PGM_RSRC3_GFX90A:ACCUM_OFFSET: 0
; COMPUTE_PGM_RSRC3_GFX90A:TG_SPLIT: 0
	.section	.text._ZN7rocprim17ROCPRIM_400000_NS6detail17trampoline_kernelINS0_14default_configENS1_27scan_by_key_config_selectorImiEEZZNS1_16scan_by_key_implILNS1_25lookback_scan_determinismE0ELb0ES3_N6thrust23THRUST_200600_302600_NS18transform_iteratorI9row_indexNS9_17counting_iteratorImNS9_11use_defaultESD_SD_EESD_SD_EENS9_6detail15normal_iteratorINS9_10device_ptrIiEEEESK_iNS9_4plusIvEENS9_8equal_toIvEEiEE10hipError_tPvRmT2_T3_T4_T5_mT6_T7_P12ihipStream_tbENKUlT_T0_E_clISt17integral_constantIbLb0EES14_IbLb1EEEEDaS10_S11_EUlS10_E_NS1_11comp_targetILNS1_3genE5ELNS1_11target_archE942ELNS1_3gpuE9ELNS1_3repE0EEENS1_30default_config_static_selectorELNS0_4arch9wavefront6targetE1EEEvT1_,"axG",@progbits,_ZN7rocprim17ROCPRIM_400000_NS6detail17trampoline_kernelINS0_14default_configENS1_27scan_by_key_config_selectorImiEEZZNS1_16scan_by_key_implILNS1_25lookback_scan_determinismE0ELb0ES3_N6thrust23THRUST_200600_302600_NS18transform_iteratorI9row_indexNS9_17counting_iteratorImNS9_11use_defaultESD_SD_EESD_SD_EENS9_6detail15normal_iteratorINS9_10device_ptrIiEEEESK_iNS9_4plusIvEENS9_8equal_toIvEEiEE10hipError_tPvRmT2_T3_T4_T5_mT6_T7_P12ihipStream_tbENKUlT_T0_E_clISt17integral_constantIbLb0EES14_IbLb1EEEEDaS10_S11_EUlS10_E_NS1_11comp_targetILNS1_3genE5ELNS1_11target_archE942ELNS1_3gpuE9ELNS1_3repE0EEENS1_30default_config_static_selectorELNS0_4arch9wavefront6targetE1EEEvT1_,comdat
	.protected	_ZN7rocprim17ROCPRIM_400000_NS6detail17trampoline_kernelINS0_14default_configENS1_27scan_by_key_config_selectorImiEEZZNS1_16scan_by_key_implILNS1_25lookback_scan_determinismE0ELb0ES3_N6thrust23THRUST_200600_302600_NS18transform_iteratorI9row_indexNS9_17counting_iteratorImNS9_11use_defaultESD_SD_EESD_SD_EENS9_6detail15normal_iteratorINS9_10device_ptrIiEEEESK_iNS9_4plusIvEENS9_8equal_toIvEEiEE10hipError_tPvRmT2_T3_T4_T5_mT6_T7_P12ihipStream_tbENKUlT_T0_E_clISt17integral_constantIbLb0EES14_IbLb1EEEEDaS10_S11_EUlS10_E_NS1_11comp_targetILNS1_3genE5ELNS1_11target_archE942ELNS1_3gpuE9ELNS1_3repE0EEENS1_30default_config_static_selectorELNS0_4arch9wavefront6targetE1EEEvT1_ ; -- Begin function _ZN7rocprim17ROCPRIM_400000_NS6detail17trampoline_kernelINS0_14default_configENS1_27scan_by_key_config_selectorImiEEZZNS1_16scan_by_key_implILNS1_25lookback_scan_determinismE0ELb0ES3_N6thrust23THRUST_200600_302600_NS18transform_iteratorI9row_indexNS9_17counting_iteratorImNS9_11use_defaultESD_SD_EESD_SD_EENS9_6detail15normal_iteratorINS9_10device_ptrIiEEEESK_iNS9_4plusIvEENS9_8equal_toIvEEiEE10hipError_tPvRmT2_T3_T4_T5_mT6_T7_P12ihipStream_tbENKUlT_T0_E_clISt17integral_constantIbLb0EES14_IbLb1EEEEDaS10_S11_EUlS10_E_NS1_11comp_targetILNS1_3genE5ELNS1_11target_archE942ELNS1_3gpuE9ELNS1_3repE0EEENS1_30default_config_static_selectorELNS0_4arch9wavefront6targetE1EEEvT1_
	.globl	_ZN7rocprim17ROCPRIM_400000_NS6detail17trampoline_kernelINS0_14default_configENS1_27scan_by_key_config_selectorImiEEZZNS1_16scan_by_key_implILNS1_25lookback_scan_determinismE0ELb0ES3_N6thrust23THRUST_200600_302600_NS18transform_iteratorI9row_indexNS9_17counting_iteratorImNS9_11use_defaultESD_SD_EESD_SD_EENS9_6detail15normal_iteratorINS9_10device_ptrIiEEEESK_iNS9_4plusIvEENS9_8equal_toIvEEiEE10hipError_tPvRmT2_T3_T4_T5_mT6_T7_P12ihipStream_tbENKUlT_T0_E_clISt17integral_constantIbLb0EES14_IbLb1EEEEDaS10_S11_EUlS10_E_NS1_11comp_targetILNS1_3genE5ELNS1_11target_archE942ELNS1_3gpuE9ELNS1_3repE0EEENS1_30default_config_static_selectorELNS0_4arch9wavefront6targetE1EEEvT1_
	.p2align	8
	.type	_ZN7rocprim17ROCPRIM_400000_NS6detail17trampoline_kernelINS0_14default_configENS1_27scan_by_key_config_selectorImiEEZZNS1_16scan_by_key_implILNS1_25lookback_scan_determinismE0ELb0ES3_N6thrust23THRUST_200600_302600_NS18transform_iteratorI9row_indexNS9_17counting_iteratorImNS9_11use_defaultESD_SD_EESD_SD_EENS9_6detail15normal_iteratorINS9_10device_ptrIiEEEESK_iNS9_4plusIvEENS9_8equal_toIvEEiEE10hipError_tPvRmT2_T3_T4_T5_mT6_T7_P12ihipStream_tbENKUlT_T0_E_clISt17integral_constantIbLb0EES14_IbLb1EEEEDaS10_S11_EUlS10_E_NS1_11comp_targetILNS1_3genE5ELNS1_11target_archE942ELNS1_3gpuE9ELNS1_3repE0EEENS1_30default_config_static_selectorELNS0_4arch9wavefront6targetE1EEEvT1_,@function
_ZN7rocprim17ROCPRIM_400000_NS6detail17trampoline_kernelINS0_14default_configENS1_27scan_by_key_config_selectorImiEEZZNS1_16scan_by_key_implILNS1_25lookback_scan_determinismE0ELb0ES3_N6thrust23THRUST_200600_302600_NS18transform_iteratorI9row_indexNS9_17counting_iteratorImNS9_11use_defaultESD_SD_EESD_SD_EENS9_6detail15normal_iteratorINS9_10device_ptrIiEEEESK_iNS9_4plusIvEENS9_8equal_toIvEEiEE10hipError_tPvRmT2_T3_T4_T5_mT6_T7_P12ihipStream_tbENKUlT_T0_E_clISt17integral_constantIbLb0EES14_IbLb1EEEEDaS10_S11_EUlS10_E_NS1_11comp_targetILNS1_3genE5ELNS1_11target_archE942ELNS1_3gpuE9ELNS1_3repE0EEENS1_30default_config_static_selectorELNS0_4arch9wavefront6targetE1EEEvT1_: ; @_ZN7rocprim17ROCPRIM_400000_NS6detail17trampoline_kernelINS0_14default_configENS1_27scan_by_key_config_selectorImiEEZZNS1_16scan_by_key_implILNS1_25lookback_scan_determinismE0ELb0ES3_N6thrust23THRUST_200600_302600_NS18transform_iteratorI9row_indexNS9_17counting_iteratorImNS9_11use_defaultESD_SD_EESD_SD_EENS9_6detail15normal_iteratorINS9_10device_ptrIiEEEESK_iNS9_4plusIvEENS9_8equal_toIvEEiEE10hipError_tPvRmT2_T3_T4_T5_mT6_T7_P12ihipStream_tbENKUlT_T0_E_clISt17integral_constantIbLb0EES14_IbLb1EEEEDaS10_S11_EUlS10_E_NS1_11comp_targetILNS1_3genE5ELNS1_11target_archE942ELNS1_3gpuE9ELNS1_3repE0EEENS1_30default_config_static_selectorELNS0_4arch9wavefront6targetE1EEEvT1_
; %bb.0:
	.section	.rodata,"a",@progbits
	.p2align	6, 0x0
	.amdhsa_kernel _ZN7rocprim17ROCPRIM_400000_NS6detail17trampoline_kernelINS0_14default_configENS1_27scan_by_key_config_selectorImiEEZZNS1_16scan_by_key_implILNS1_25lookback_scan_determinismE0ELb0ES3_N6thrust23THRUST_200600_302600_NS18transform_iteratorI9row_indexNS9_17counting_iteratorImNS9_11use_defaultESD_SD_EESD_SD_EENS9_6detail15normal_iteratorINS9_10device_ptrIiEEEESK_iNS9_4plusIvEENS9_8equal_toIvEEiEE10hipError_tPvRmT2_T3_T4_T5_mT6_T7_P12ihipStream_tbENKUlT_T0_E_clISt17integral_constantIbLb0EES14_IbLb1EEEEDaS10_S11_EUlS10_E_NS1_11comp_targetILNS1_3genE5ELNS1_11target_archE942ELNS1_3gpuE9ELNS1_3repE0EEENS1_30default_config_static_selectorELNS0_4arch9wavefront6targetE1EEEvT1_
		.amdhsa_group_segment_fixed_size 0
		.amdhsa_private_segment_fixed_size 0
		.amdhsa_kernarg_size 120
		.amdhsa_user_sgpr_count 6
		.amdhsa_user_sgpr_private_segment_buffer 1
		.amdhsa_user_sgpr_dispatch_ptr 0
		.amdhsa_user_sgpr_queue_ptr 0
		.amdhsa_user_sgpr_kernarg_segment_ptr 1
		.amdhsa_user_sgpr_dispatch_id 0
		.amdhsa_user_sgpr_flat_scratch_init 0
		.amdhsa_user_sgpr_kernarg_preload_length 0
		.amdhsa_user_sgpr_kernarg_preload_offset 0
		.amdhsa_user_sgpr_private_segment_size 0
		.amdhsa_uses_dynamic_stack 0
		.amdhsa_system_sgpr_private_segment_wavefront_offset 0
		.amdhsa_system_sgpr_workgroup_id_x 1
		.amdhsa_system_sgpr_workgroup_id_y 0
		.amdhsa_system_sgpr_workgroup_id_z 0
		.amdhsa_system_sgpr_workgroup_info 0
		.amdhsa_system_vgpr_workitem_id 0
		.amdhsa_next_free_vgpr 1
		.amdhsa_next_free_sgpr 0
		.amdhsa_accum_offset 4
		.amdhsa_reserve_vcc 0
		.amdhsa_reserve_flat_scratch 0
		.amdhsa_float_round_mode_32 0
		.amdhsa_float_round_mode_16_64 0
		.amdhsa_float_denorm_mode_32 3
		.amdhsa_float_denorm_mode_16_64 3
		.amdhsa_dx10_clamp 1
		.amdhsa_ieee_mode 1
		.amdhsa_fp16_overflow 0
		.amdhsa_tg_split 0
		.amdhsa_exception_fp_ieee_invalid_op 0
		.amdhsa_exception_fp_denorm_src 0
		.amdhsa_exception_fp_ieee_div_zero 0
		.amdhsa_exception_fp_ieee_overflow 0
		.amdhsa_exception_fp_ieee_underflow 0
		.amdhsa_exception_fp_ieee_inexact 0
		.amdhsa_exception_int_div_zero 0
	.end_amdhsa_kernel
	.section	.text._ZN7rocprim17ROCPRIM_400000_NS6detail17trampoline_kernelINS0_14default_configENS1_27scan_by_key_config_selectorImiEEZZNS1_16scan_by_key_implILNS1_25lookback_scan_determinismE0ELb0ES3_N6thrust23THRUST_200600_302600_NS18transform_iteratorI9row_indexNS9_17counting_iteratorImNS9_11use_defaultESD_SD_EESD_SD_EENS9_6detail15normal_iteratorINS9_10device_ptrIiEEEESK_iNS9_4plusIvEENS9_8equal_toIvEEiEE10hipError_tPvRmT2_T3_T4_T5_mT6_T7_P12ihipStream_tbENKUlT_T0_E_clISt17integral_constantIbLb0EES14_IbLb1EEEEDaS10_S11_EUlS10_E_NS1_11comp_targetILNS1_3genE5ELNS1_11target_archE942ELNS1_3gpuE9ELNS1_3repE0EEENS1_30default_config_static_selectorELNS0_4arch9wavefront6targetE1EEEvT1_,"axG",@progbits,_ZN7rocprim17ROCPRIM_400000_NS6detail17trampoline_kernelINS0_14default_configENS1_27scan_by_key_config_selectorImiEEZZNS1_16scan_by_key_implILNS1_25lookback_scan_determinismE0ELb0ES3_N6thrust23THRUST_200600_302600_NS18transform_iteratorI9row_indexNS9_17counting_iteratorImNS9_11use_defaultESD_SD_EESD_SD_EENS9_6detail15normal_iteratorINS9_10device_ptrIiEEEESK_iNS9_4plusIvEENS9_8equal_toIvEEiEE10hipError_tPvRmT2_T3_T4_T5_mT6_T7_P12ihipStream_tbENKUlT_T0_E_clISt17integral_constantIbLb0EES14_IbLb1EEEEDaS10_S11_EUlS10_E_NS1_11comp_targetILNS1_3genE5ELNS1_11target_archE942ELNS1_3gpuE9ELNS1_3repE0EEENS1_30default_config_static_selectorELNS0_4arch9wavefront6targetE1EEEvT1_,comdat
.Lfunc_end38:
	.size	_ZN7rocprim17ROCPRIM_400000_NS6detail17trampoline_kernelINS0_14default_configENS1_27scan_by_key_config_selectorImiEEZZNS1_16scan_by_key_implILNS1_25lookback_scan_determinismE0ELb0ES3_N6thrust23THRUST_200600_302600_NS18transform_iteratorI9row_indexNS9_17counting_iteratorImNS9_11use_defaultESD_SD_EESD_SD_EENS9_6detail15normal_iteratorINS9_10device_ptrIiEEEESK_iNS9_4plusIvEENS9_8equal_toIvEEiEE10hipError_tPvRmT2_T3_T4_T5_mT6_T7_P12ihipStream_tbENKUlT_T0_E_clISt17integral_constantIbLb0EES14_IbLb1EEEEDaS10_S11_EUlS10_E_NS1_11comp_targetILNS1_3genE5ELNS1_11target_archE942ELNS1_3gpuE9ELNS1_3repE0EEENS1_30default_config_static_selectorELNS0_4arch9wavefront6targetE1EEEvT1_, .Lfunc_end38-_ZN7rocprim17ROCPRIM_400000_NS6detail17trampoline_kernelINS0_14default_configENS1_27scan_by_key_config_selectorImiEEZZNS1_16scan_by_key_implILNS1_25lookback_scan_determinismE0ELb0ES3_N6thrust23THRUST_200600_302600_NS18transform_iteratorI9row_indexNS9_17counting_iteratorImNS9_11use_defaultESD_SD_EESD_SD_EENS9_6detail15normal_iteratorINS9_10device_ptrIiEEEESK_iNS9_4plusIvEENS9_8equal_toIvEEiEE10hipError_tPvRmT2_T3_T4_T5_mT6_T7_P12ihipStream_tbENKUlT_T0_E_clISt17integral_constantIbLb0EES14_IbLb1EEEEDaS10_S11_EUlS10_E_NS1_11comp_targetILNS1_3genE5ELNS1_11target_archE942ELNS1_3gpuE9ELNS1_3repE0EEENS1_30default_config_static_selectorELNS0_4arch9wavefront6targetE1EEEvT1_
                                        ; -- End function
	.section	.AMDGPU.csdata,"",@progbits
; Kernel info:
; codeLenInByte = 0
; NumSgprs: 4
; NumVgprs: 0
; NumAgprs: 0
; TotalNumVgprs: 0
; ScratchSize: 0
; MemoryBound: 0
; FloatMode: 240
; IeeeMode: 1
; LDSByteSize: 0 bytes/workgroup (compile time only)
; SGPRBlocks: 0
; VGPRBlocks: 0
; NumSGPRsForWavesPerEU: 4
; NumVGPRsForWavesPerEU: 1
; AccumOffset: 4
; Occupancy: 8
; WaveLimiterHint : 0
; COMPUTE_PGM_RSRC2:SCRATCH_EN: 0
; COMPUTE_PGM_RSRC2:USER_SGPR: 6
; COMPUTE_PGM_RSRC2:TRAP_HANDLER: 0
; COMPUTE_PGM_RSRC2:TGID_X_EN: 1
; COMPUTE_PGM_RSRC2:TGID_Y_EN: 0
; COMPUTE_PGM_RSRC2:TGID_Z_EN: 0
; COMPUTE_PGM_RSRC2:TIDIG_COMP_CNT: 0
; COMPUTE_PGM_RSRC3_GFX90A:ACCUM_OFFSET: 0
; COMPUTE_PGM_RSRC3_GFX90A:TG_SPLIT: 0
	.section	.text._ZN7rocprim17ROCPRIM_400000_NS6detail17trampoline_kernelINS0_14default_configENS1_27scan_by_key_config_selectorImiEEZZNS1_16scan_by_key_implILNS1_25lookback_scan_determinismE0ELb0ES3_N6thrust23THRUST_200600_302600_NS18transform_iteratorI9row_indexNS9_17counting_iteratorImNS9_11use_defaultESD_SD_EESD_SD_EENS9_6detail15normal_iteratorINS9_10device_ptrIiEEEESK_iNS9_4plusIvEENS9_8equal_toIvEEiEE10hipError_tPvRmT2_T3_T4_T5_mT6_T7_P12ihipStream_tbENKUlT_T0_E_clISt17integral_constantIbLb0EES14_IbLb1EEEEDaS10_S11_EUlS10_E_NS1_11comp_targetILNS1_3genE4ELNS1_11target_archE910ELNS1_3gpuE8ELNS1_3repE0EEENS1_30default_config_static_selectorELNS0_4arch9wavefront6targetE1EEEvT1_,"axG",@progbits,_ZN7rocprim17ROCPRIM_400000_NS6detail17trampoline_kernelINS0_14default_configENS1_27scan_by_key_config_selectorImiEEZZNS1_16scan_by_key_implILNS1_25lookback_scan_determinismE0ELb0ES3_N6thrust23THRUST_200600_302600_NS18transform_iteratorI9row_indexNS9_17counting_iteratorImNS9_11use_defaultESD_SD_EESD_SD_EENS9_6detail15normal_iteratorINS9_10device_ptrIiEEEESK_iNS9_4plusIvEENS9_8equal_toIvEEiEE10hipError_tPvRmT2_T3_T4_T5_mT6_T7_P12ihipStream_tbENKUlT_T0_E_clISt17integral_constantIbLb0EES14_IbLb1EEEEDaS10_S11_EUlS10_E_NS1_11comp_targetILNS1_3genE4ELNS1_11target_archE910ELNS1_3gpuE8ELNS1_3repE0EEENS1_30default_config_static_selectorELNS0_4arch9wavefront6targetE1EEEvT1_,comdat
	.protected	_ZN7rocprim17ROCPRIM_400000_NS6detail17trampoline_kernelINS0_14default_configENS1_27scan_by_key_config_selectorImiEEZZNS1_16scan_by_key_implILNS1_25lookback_scan_determinismE0ELb0ES3_N6thrust23THRUST_200600_302600_NS18transform_iteratorI9row_indexNS9_17counting_iteratorImNS9_11use_defaultESD_SD_EESD_SD_EENS9_6detail15normal_iteratorINS9_10device_ptrIiEEEESK_iNS9_4plusIvEENS9_8equal_toIvEEiEE10hipError_tPvRmT2_T3_T4_T5_mT6_T7_P12ihipStream_tbENKUlT_T0_E_clISt17integral_constantIbLb0EES14_IbLb1EEEEDaS10_S11_EUlS10_E_NS1_11comp_targetILNS1_3genE4ELNS1_11target_archE910ELNS1_3gpuE8ELNS1_3repE0EEENS1_30default_config_static_selectorELNS0_4arch9wavefront6targetE1EEEvT1_ ; -- Begin function _ZN7rocprim17ROCPRIM_400000_NS6detail17trampoline_kernelINS0_14default_configENS1_27scan_by_key_config_selectorImiEEZZNS1_16scan_by_key_implILNS1_25lookback_scan_determinismE0ELb0ES3_N6thrust23THRUST_200600_302600_NS18transform_iteratorI9row_indexNS9_17counting_iteratorImNS9_11use_defaultESD_SD_EESD_SD_EENS9_6detail15normal_iteratorINS9_10device_ptrIiEEEESK_iNS9_4plusIvEENS9_8equal_toIvEEiEE10hipError_tPvRmT2_T3_T4_T5_mT6_T7_P12ihipStream_tbENKUlT_T0_E_clISt17integral_constantIbLb0EES14_IbLb1EEEEDaS10_S11_EUlS10_E_NS1_11comp_targetILNS1_3genE4ELNS1_11target_archE910ELNS1_3gpuE8ELNS1_3repE0EEENS1_30default_config_static_selectorELNS0_4arch9wavefront6targetE1EEEvT1_
	.globl	_ZN7rocprim17ROCPRIM_400000_NS6detail17trampoline_kernelINS0_14default_configENS1_27scan_by_key_config_selectorImiEEZZNS1_16scan_by_key_implILNS1_25lookback_scan_determinismE0ELb0ES3_N6thrust23THRUST_200600_302600_NS18transform_iteratorI9row_indexNS9_17counting_iteratorImNS9_11use_defaultESD_SD_EESD_SD_EENS9_6detail15normal_iteratorINS9_10device_ptrIiEEEESK_iNS9_4plusIvEENS9_8equal_toIvEEiEE10hipError_tPvRmT2_T3_T4_T5_mT6_T7_P12ihipStream_tbENKUlT_T0_E_clISt17integral_constantIbLb0EES14_IbLb1EEEEDaS10_S11_EUlS10_E_NS1_11comp_targetILNS1_3genE4ELNS1_11target_archE910ELNS1_3gpuE8ELNS1_3repE0EEENS1_30default_config_static_selectorELNS0_4arch9wavefront6targetE1EEEvT1_
	.p2align	8
	.type	_ZN7rocprim17ROCPRIM_400000_NS6detail17trampoline_kernelINS0_14default_configENS1_27scan_by_key_config_selectorImiEEZZNS1_16scan_by_key_implILNS1_25lookback_scan_determinismE0ELb0ES3_N6thrust23THRUST_200600_302600_NS18transform_iteratorI9row_indexNS9_17counting_iteratorImNS9_11use_defaultESD_SD_EESD_SD_EENS9_6detail15normal_iteratorINS9_10device_ptrIiEEEESK_iNS9_4plusIvEENS9_8equal_toIvEEiEE10hipError_tPvRmT2_T3_T4_T5_mT6_T7_P12ihipStream_tbENKUlT_T0_E_clISt17integral_constantIbLb0EES14_IbLb1EEEEDaS10_S11_EUlS10_E_NS1_11comp_targetILNS1_3genE4ELNS1_11target_archE910ELNS1_3gpuE8ELNS1_3repE0EEENS1_30default_config_static_selectorELNS0_4arch9wavefront6targetE1EEEvT1_,@function
_ZN7rocprim17ROCPRIM_400000_NS6detail17trampoline_kernelINS0_14default_configENS1_27scan_by_key_config_selectorImiEEZZNS1_16scan_by_key_implILNS1_25lookback_scan_determinismE0ELb0ES3_N6thrust23THRUST_200600_302600_NS18transform_iteratorI9row_indexNS9_17counting_iteratorImNS9_11use_defaultESD_SD_EESD_SD_EENS9_6detail15normal_iteratorINS9_10device_ptrIiEEEESK_iNS9_4plusIvEENS9_8equal_toIvEEiEE10hipError_tPvRmT2_T3_T4_T5_mT6_T7_P12ihipStream_tbENKUlT_T0_E_clISt17integral_constantIbLb0EES14_IbLb1EEEEDaS10_S11_EUlS10_E_NS1_11comp_targetILNS1_3genE4ELNS1_11target_archE910ELNS1_3gpuE8ELNS1_3repE0EEENS1_30default_config_static_selectorELNS0_4arch9wavefront6targetE1EEEvT1_: ; @_ZN7rocprim17ROCPRIM_400000_NS6detail17trampoline_kernelINS0_14default_configENS1_27scan_by_key_config_selectorImiEEZZNS1_16scan_by_key_implILNS1_25lookback_scan_determinismE0ELb0ES3_N6thrust23THRUST_200600_302600_NS18transform_iteratorI9row_indexNS9_17counting_iteratorImNS9_11use_defaultESD_SD_EESD_SD_EENS9_6detail15normal_iteratorINS9_10device_ptrIiEEEESK_iNS9_4plusIvEENS9_8equal_toIvEEiEE10hipError_tPvRmT2_T3_T4_T5_mT6_T7_P12ihipStream_tbENKUlT_T0_E_clISt17integral_constantIbLb0EES14_IbLb1EEEEDaS10_S11_EUlS10_E_NS1_11comp_targetILNS1_3genE4ELNS1_11target_archE910ELNS1_3gpuE8ELNS1_3repE0EEENS1_30default_config_static_selectorELNS0_4arch9wavefront6targetE1EEEvT1_
; %bb.0:
	s_load_dwordx8 s[48:55], s[4:5], 0x0
	s_load_dwordx2 s[38:39], s[4:5], 0x20
	s_load_dwordx4 s[56:59], s[4:5], 0x30
	s_load_dwordx2 s[60:61], s[4:5], 0x40
	s_load_dwordx2 s[6:7], s[4:5], 0x70
	s_load_dwordx8 s[40:47], s[4:5], 0x50
	v_cmp_ne_u32_e64 s[36:37], 0, v0
	v_cmp_eq_u32_e64 s[0:1], 0, v0
	s_and_saveexec_b64 s[2:3], s[0:1]
	s_cbranch_execz .LBB39_4
; %bb.1:
	s_mov_b64 s[10:11], exec
	v_mbcnt_lo_u32_b32 v1, s10, 0
	v_mbcnt_hi_u32_b32 v1, s11, v1
	v_cmp_eq_u32_e32 vcc, 0, v1
                                        ; implicit-def: $vgpr2
	s_and_saveexec_b64 s[8:9], vcc
	s_cbranch_execz .LBB39_3
; %bb.2:
	s_bcnt1_i32_b64 s10, s[10:11]
	v_mov_b32_e32 v2, 0
	v_mov_b32_e32 v3, s10
	s_waitcnt lgkmcnt(0)
	global_atomic_add v2, v2, v3, s[6:7] glc
.LBB39_3:
	s_or_b64 exec, exec, s[8:9]
	s_waitcnt vmcnt(0) lgkmcnt(0)
	v_readfirstlane_b32 s6, v2
	v_add_u32_e32 v1, s6, v1
	v_mov_b32_e32 v2, 0
	ds_write_b32 v2, v1
.LBB39_4:
	s_or_b64 exec, exec, s[2:3]
	s_load_dword s2, s[4:5], 0x48
	v_mov_b32_e32 v1, 0
	s_waitcnt lgkmcnt(0)
	s_barrier
	ds_read_b32 v1, v1
	s_add_u32 s3, s52, s48
	s_addc_u32 s6, s53, s49
	s_lshl_b64 s[48:49], s[52:53], 2
	s_add_u32 s7, s54, s48
	s_mul_i32 s4, s61, s2
	s_mul_hi_u32 s5, s60, s2
	s_addc_u32 s8, s55, s49
	s_add_i32 s9, s5, s4
	s_waitcnt lgkmcnt(0)
	v_readfirstlane_b32 s59, v1
	s_cmp_lg_u64 s[44:45], 0
	s_mul_i32 s4, s59, 0xe00
	s_cselect_b64 s[54:55], -1, 0
	s_mov_b32 s5, 0
	s_add_u32 s52, s3, s4
	s_addc_u32 s53, s6, 0
	s_lshl_b64 s[44:45], s[4:5], 2
	s_add_u32 s66, s7, s44
	s_mul_i32 s2, s60, s2
	s_addc_u32 s67, s8, s45
	s_add_u32 s62, s2, s59
	s_addc_u32 s63, s9, 0
	s_add_u32 s6, s40, -1
	s_addc_u32 s7, s41, -1
	v_pk_mov_b32 v[2:3], s[6:7], s[6:7] op_sel:[0,1]
	v_cmp_ge_u64_e64 s[2:3], s[62:63], v[2:3]
	s_mov_b64 s[18:19], 0
	s_mov_b64 s[12:13], -1
	s_and_b64 vcc, exec, s[2:3]
	s_mul_i32 s33, s6, 0xfffff200
	s_barrier
	s_barrier
	s_cbranch_vccz .LBB39_95
; %bb.5:
	s_or_b64 s[6:7], s[52:53], s[50:51]
	s_mov_b32 s6, s5
	s_cmp_lg_u64 s[6:7], 0
	s_cbranch_scc0 .LBB39_96
; %bb.6:
	v_cvt_f32_u32_e32 v1, s50
	v_cvt_f32_u32_e32 v2, s51
	s_sub_u32 s4, 0, s50
	s_subb_u32 s5, 0, s51
	v_madmk_f32 v1, v2, 0x4f800000, v1
	v_rcp_f32_e32 v1, v1
	v_mul_f32_e32 v1, 0x5f7ffffc, v1
	v_mul_f32_e32 v2, 0x2f800000, v1
	v_trunc_f32_e32 v2, v2
	v_madmk_f32 v1, v2, 0xcf800000, v1
	v_cvt_u32_f32_e32 v2, v2
	v_cvt_u32_f32_e32 v1, v1
	v_readfirstlane_b32 s8, v2
	v_readfirstlane_b32 s9, v1
	s_mul_i32 s10, s4, s8
	s_mul_hi_u32 s12, s4, s9
	s_mul_i32 s11, s5, s9
	s_add_i32 s10, s12, s10
	s_add_i32 s10, s10, s11
	s_mul_i32 s13, s4, s9
	s_mul_hi_u32 s11, s9, s10
	s_mul_i32 s12, s9, s10
	s_mul_hi_u32 s9, s9, s13
	s_add_u32 s9, s9, s12
	s_addc_u32 s11, 0, s11
	s_mul_hi_u32 s14, s8, s13
	s_mul_i32 s13, s8, s13
	s_add_u32 s9, s9, s13
	s_mul_hi_u32 s12, s8, s10
	s_addc_u32 s9, s11, s14
	s_addc_u32 s11, s12, 0
	s_mul_i32 s10, s8, s10
	s_add_u32 s9, s9, s10
	s_addc_u32 s10, 0, s11
	v_add_co_u32_e32 v1, vcc, s9, v1
	s_cmp_lg_u64 vcc, 0
	s_addc_u32 s8, s8, s10
	v_readfirstlane_b32 s10, v1
	s_mul_i32 s9, s4, s8
	s_mul_hi_u32 s11, s4, s10
	s_add_i32 s9, s11, s9
	s_mul_i32 s5, s5, s10
	s_add_i32 s9, s9, s5
	s_mul_i32 s4, s4, s10
	s_mul_hi_u32 s11, s8, s4
	s_mul_i32 s12, s8, s4
	s_mul_i32 s14, s10, s9
	s_mul_hi_u32 s4, s10, s4
	s_mul_hi_u32 s13, s10, s9
	s_add_u32 s4, s4, s14
	s_addc_u32 s10, 0, s13
	s_add_u32 s4, s4, s12
	s_mul_hi_u32 s5, s8, s9
	s_addc_u32 s4, s10, s11
	s_addc_u32 s5, s5, 0
	s_mul_i32 s9, s8, s9
	s_add_u32 s4, s4, s9
	s_addc_u32 s5, 0, s5
	v_add_co_u32_e32 v1, vcc, s4, v1
	s_cmp_lg_u64 vcc, 0
	s_addc_u32 s4, s8, s5
	v_readfirstlane_b32 s9, v1
	s_mul_i32 s8, s52, s4
	s_mul_hi_u32 s10, s52, s9
	s_mul_hi_u32 s5, s52, s4
	s_add_u32 s8, s10, s8
	s_addc_u32 s5, 0, s5
	s_mul_hi_u32 s11, s53, s9
	s_mul_i32 s9, s53, s9
	s_add_u32 s8, s8, s9
	s_mul_hi_u32 s10, s53, s4
	s_addc_u32 s5, s5, s11
	s_addc_u32 s8, s10, 0
	s_mul_i32 s4, s53, s4
	s_add_u32 s9, s5, s4
	s_addc_u32 s8, 0, s8
	s_mul_i32 s4, s50, s8
	s_mul_hi_u32 s5, s50, s9
	s_add_i32 s4, s5, s4
	s_mul_i32 s5, s51, s9
	s_add_i32 s10, s4, s5
	s_mul_i32 s5, s50, s9
	v_mov_b32_e32 v1, s5
	s_sub_i32 s4, s53, s10
	v_sub_co_u32_e32 v1, vcc, s52, v1
	s_cmp_lg_u64 vcc, 0
	s_subb_u32 s11, s4, s51
	v_subrev_co_u32_e64 v2, s[4:5], s50, v1
	s_cmp_lg_u64 s[4:5], 0
	s_subb_u32 s11, s11, 0
	s_cmp_ge_u32 s11, s51
	s_cselect_b32 s12, -1, 0
	v_cmp_le_u32_e64 s[4:5], s50, v2
	s_cmp_eq_u32 s11, s51
	v_cndmask_b32_e64 v2, 0, -1, s[4:5]
	v_mov_b32_e32 v3, s12
	s_cselect_b64 s[4:5], -1, 0
	v_cndmask_b32_e64 v2, v3, v2, s[4:5]
	s_add_u32 s4, s9, 1
	s_addc_u32 s11, s8, 0
	s_add_u32 s5, s9, 2
	s_addc_u32 s12, s8, 0
	v_mov_b32_e32 v3, s4
	v_mov_b32_e32 v4, s5
	v_cmp_ne_u32_e64 s[4:5], 0, v2
	v_cndmask_b32_e64 v2, v3, v4, s[4:5]
	v_mov_b32_e32 v3, s11
	v_mov_b32_e32 v4, s12
	s_cmp_lg_u64 vcc, 0
	v_cndmask_b32_e64 v3, v3, v4, s[4:5]
	s_subb_u32 s4, s53, s10
	s_cmp_ge_u32 s4, s51
	s_cselect_b32 s5, -1, 0
	v_cmp_le_u32_e32 vcc, s50, v1
	s_cmp_eq_u32 s4, s51
	v_cndmask_b32_e64 v1, 0, -1, vcc
	v_mov_b32_e32 v4, s5
	s_cselect_b64 vcc, -1, 0
	v_cndmask_b32_e32 v1, v4, v1, vcc
	v_mov_b32_e32 v4, s8
	v_cmp_ne_u32_e32 vcc, 0, v1
	v_mov_b32_e32 v1, s9
	v_cndmask_b32_e32 v55, v4, v3, vcc
	v_cndmask_b32_e32 v54, v1, v2, vcc
	s_cbranch_execnz .LBB39_8
.LBB39_7:
	v_cvt_f32_u32_e32 v1, s50
	s_sub_i32 s4, 0, s50
	s_mov_b32 s5, 0
	v_rcp_iflag_f32_e32 v1, v1
	v_mul_f32_e32 v1, 0x4f7ffffe, v1
	v_cvt_u32_f32_e32 v1, v1
	v_readfirstlane_b32 s6, v1
	s_mul_i32 s4, s4, s6
	s_mul_hi_u32 s4, s6, s4
	s_add_i32 s6, s6, s4
	s_mul_hi_u32 s4, s52, s6
	s_mul_i32 s7, s4, s50
	s_sub_i32 s7, s52, s7
	s_add_i32 s6, s4, 1
	s_sub_i32 s8, s7, s50
	s_cmp_ge_u32 s7, s50
	s_cselect_b32 s4, s6, s4
	s_cselect_b32 s7, s8, s7
	s_add_i32 s6, s4, 1
	s_cmp_ge_u32 s7, s50
	s_cselect_b32 s4, s6, s4
	v_pk_mov_b32 v[54:55], s[4:5], s[4:5] op_sel:[0,1]
.LBB39_8:
	s_add_i32 s68, s33, s58
	v_cmp_gt_u32_e64 s[6:7], s68, v0
	v_pk_mov_b32 v[2:3], v[54:55], v[54:55] op_sel:[0,1]
	s_and_saveexec_b64 s[8:9], s[6:7]
	s_cbranch_execz .LBB39_14
; %bb.9:
	v_mov_b32_e32 v3, s53
	v_add_co_u32_e32 v1, vcc, s52, v0
	v_addc_co_u32_e32 v4, vcc, 0, v3, vcc
	v_mov_b32_e32 v2, 0
	v_or_b32_e32 v3, s51, v4
	v_cmp_ne_u64_e32 vcc, 0, v[2:3]
                                        ; implicit-def: $vgpr2_vgpr3
	s_and_saveexec_b64 s[4:5], vcc
	s_xor_b64 s[10:11], exec, s[4:5]
	s_cbranch_execz .LBB39_11
; %bb.10:
	v_cvt_f32_u32_e32 v2, s50
	v_cvt_f32_u32_e32 v3, s51
	s_sub_u32 s4, 0, s50
	s_subb_u32 s5, 0, s51
	v_madmk_f32 v2, v3, 0x4f800000, v2
	v_rcp_f32_e32 v2, v2
	v_mul_f32_e32 v2, 0x5f7ffffc, v2
	v_mul_f32_e32 v3, 0x2f800000, v2
	v_trunc_f32_e32 v3, v3
	v_madmk_f32 v2, v3, 0xcf800000, v2
	v_cvt_u32_f32_e32 v3, v3
	v_cvt_u32_f32_e32 v2, v2
	v_mul_lo_u32 v5, s4, v3
	v_mul_hi_u32 v7, s4, v2
	v_mul_lo_u32 v6, s5, v2
	v_add_u32_e32 v5, v7, v5
	v_mul_lo_u32 v8, s4, v2
	v_add_u32_e32 v5, v5, v6
	v_mul_hi_u32 v7, v2, v8
	v_mul_lo_u32 v9, v2, v5
	v_mul_hi_u32 v6, v2, v5
	v_add_co_u32_e32 v7, vcc, v7, v9
	v_addc_co_u32_e32 v6, vcc, 0, v6, vcc
	v_mul_hi_u32 v10, v3, v8
	v_mul_lo_u32 v8, v3, v8
	v_add_co_u32_e32 v7, vcc, v7, v8
	v_mul_hi_u32 v9, v3, v5
	v_addc_co_u32_e32 v6, vcc, v6, v10, vcc
	v_addc_co_u32_e32 v7, vcc, 0, v9, vcc
	v_mul_lo_u32 v5, v3, v5
	v_add_co_u32_e32 v5, vcc, v6, v5
	v_addc_co_u32_e32 v6, vcc, 0, v7, vcc
	v_add_co_u32_e32 v2, vcc, v2, v5
	v_addc_co_u32_e32 v3, vcc, v3, v6, vcc
	v_mul_lo_u32 v5, s4, v3
	v_mul_hi_u32 v6, s4, v2
	v_add_u32_e32 v5, v6, v5
	v_mul_lo_u32 v6, s5, v2
	v_add_u32_e32 v5, v5, v6
	v_mul_lo_u32 v7, s4, v2
	v_mul_hi_u32 v8, v3, v7
	v_mul_lo_u32 v9, v3, v7
	v_mul_lo_u32 v11, v2, v5
	v_mul_hi_u32 v7, v2, v7
	v_mul_hi_u32 v10, v2, v5
	v_add_co_u32_e32 v7, vcc, v7, v11
	v_addc_co_u32_e32 v10, vcc, 0, v10, vcc
	v_add_co_u32_e32 v7, vcc, v7, v9
	v_mul_hi_u32 v6, v3, v5
	v_addc_co_u32_e32 v7, vcc, v10, v8, vcc
	v_addc_co_u32_e32 v6, vcc, 0, v6, vcc
	v_mul_lo_u32 v5, v3, v5
	v_add_co_u32_e32 v5, vcc, v7, v5
	v_addc_co_u32_e32 v6, vcc, 0, v6, vcc
	v_add_co_u32_e32 v5, vcc, v2, v5
	v_addc_co_u32_e32 v6, vcc, v3, v6, vcc
	v_mad_u64_u32 v[2:3], s[4:5], v1, v6, 0
	v_mul_hi_u32 v7, v1, v5
	v_add_co_u32_e32 v8, vcc, v7, v2
	v_addc_co_u32_e32 v9, vcc, 0, v3, vcc
	v_mad_u64_u32 v[2:3], s[4:5], v4, v6, 0
	v_mad_u64_u32 v[6:7], s[4:5], v4, v5, 0
	v_add_co_u32_e32 v5, vcc, v8, v6
	v_addc_co_u32_e32 v5, vcc, v9, v7, vcc
	v_addc_co_u32_e32 v3, vcc, 0, v3, vcc
	v_add_co_u32_e32 v5, vcc, v5, v2
	v_addc_co_u32_e32 v6, vcc, 0, v3, vcc
	v_mul_lo_u32 v7, s51, v5
	v_mul_lo_u32 v8, s50, v6
	v_mad_u64_u32 v[2:3], s[4:5], s50, v5, 0
	v_add3_u32 v3, v3, v8, v7
	v_sub_u32_e32 v7, v4, v3
	v_mov_b32_e32 v8, s51
	v_sub_co_u32_e32 v1, vcc, v1, v2
	v_subb_co_u32_e64 v2, s[4:5], v7, v8, vcc
	v_subrev_co_u32_e64 v7, s[4:5], s50, v1
	v_subbrev_co_u32_e64 v2, s[4:5], 0, v2, s[4:5]
	v_cmp_le_u32_e64 s[4:5], s51, v2
	v_cndmask_b32_e64 v8, 0, -1, s[4:5]
	v_cmp_le_u32_e64 s[4:5], s50, v7
	v_cndmask_b32_e64 v7, 0, -1, s[4:5]
	v_cmp_eq_u32_e64 s[4:5], s51, v2
	v_cndmask_b32_e64 v2, v8, v7, s[4:5]
	v_add_co_u32_e64 v7, s[4:5], 2, v5
	v_subb_co_u32_e32 v3, vcc, v4, v3, vcc
	v_addc_co_u32_e64 v8, s[4:5], 0, v6, s[4:5]
	v_cmp_le_u32_e32 vcc, s51, v3
	v_add_co_u32_e64 v9, s[4:5], 1, v5
	v_cndmask_b32_e64 v4, 0, -1, vcc
	v_cmp_le_u32_e32 vcc, s50, v1
	v_addc_co_u32_e64 v10, s[4:5], 0, v6, s[4:5]
	v_cndmask_b32_e64 v1, 0, -1, vcc
	v_cmp_eq_u32_e32 vcc, s51, v3
	v_cmp_ne_u32_e64 s[4:5], 0, v2
	v_cndmask_b32_e32 v1, v4, v1, vcc
	v_cndmask_b32_e64 v2, v10, v8, s[4:5]
	v_cmp_ne_u32_e32 vcc, 0, v1
	v_cndmask_b32_e64 v1, v9, v7, s[4:5]
	v_cndmask_b32_e32 v3, v6, v2, vcc
	v_cndmask_b32_e32 v2, v5, v1, vcc
                                        ; implicit-def: $vgpr1
.LBB39_11:
	s_andn2_saveexec_b64 s[4:5], s[10:11]
	s_cbranch_execz .LBB39_13
; %bb.12:
	v_cvt_f32_u32_e32 v2, s50
	s_sub_i32 s10, 0, s50
	v_rcp_iflag_f32_e32 v2, v2
	v_mul_f32_e32 v2, 0x4f7ffffe, v2
	v_cvt_u32_f32_e32 v2, v2
	v_mul_lo_u32 v3, s10, v2
	v_mul_hi_u32 v3, v2, v3
	v_add_u32_e32 v2, v2, v3
	v_mul_hi_u32 v2, v1, v2
	v_mul_lo_u32 v3, v2, s50
	v_sub_u32_e32 v1, v1, v3
	v_add_u32_e32 v4, 1, v2
	v_subrev_u32_e32 v3, s50, v1
	v_cmp_le_u32_e32 vcc, s50, v1
	v_cndmask_b32_e32 v1, v1, v3, vcc
	v_cndmask_b32_e32 v2, v2, v4, vcc
	v_add_u32_e32 v3, 1, v2
	v_cmp_le_u32_e32 vcc, s50, v1
	v_cndmask_b32_e32 v2, v2, v3, vcc
	v_mov_b32_e32 v3, 0
.LBB39_13:
	s_or_b64 exec, exec, s[4:5]
.LBB39_14:
	s_or_b64 exec, exec, s[8:9]
	v_or_b32_e32 v1, 0x100, v0
	v_cmp_gt_u32_e64 s[8:9], s68, v1
	v_pk_mov_b32 v[4:5], v[54:55], v[54:55] op_sel:[0,1]
	s_and_saveexec_b64 s[10:11], s[8:9]
	s_cbranch_execz .LBB39_20
; %bb.15:
	v_mov_b32_e32 v5, s53
	v_add_co_u32_e32 v1, vcc, s52, v1
	v_addc_co_u32_e32 v6, vcc, 0, v5, vcc
	v_mov_b32_e32 v4, 0
	v_or_b32_e32 v5, s51, v6
	v_cmp_ne_u64_e32 vcc, 0, v[4:5]
                                        ; implicit-def: $vgpr4_vgpr5
	s_and_saveexec_b64 s[4:5], vcc
	s_xor_b64 s[12:13], exec, s[4:5]
	s_cbranch_execz .LBB39_17
; %bb.16:
	v_cvt_f32_u32_e32 v4, s50
	v_cvt_f32_u32_e32 v5, s51
	s_sub_u32 s4, 0, s50
	s_subb_u32 s5, 0, s51
	v_madmk_f32 v4, v5, 0x4f800000, v4
	v_rcp_f32_e32 v4, v4
	v_mul_f32_e32 v4, 0x5f7ffffc, v4
	v_mul_f32_e32 v5, 0x2f800000, v4
	v_trunc_f32_e32 v5, v5
	v_madmk_f32 v4, v5, 0xcf800000, v4
	v_cvt_u32_f32_e32 v5, v5
	v_cvt_u32_f32_e32 v4, v4
	v_mul_lo_u32 v7, s4, v5
	v_mul_hi_u32 v9, s4, v4
	v_mul_lo_u32 v8, s5, v4
	v_add_u32_e32 v7, v9, v7
	v_mul_lo_u32 v10, s4, v4
	v_add_u32_e32 v7, v7, v8
	v_mul_hi_u32 v9, v4, v10
	v_mul_lo_u32 v11, v4, v7
	v_mul_hi_u32 v8, v4, v7
	v_add_co_u32_e32 v9, vcc, v9, v11
	v_addc_co_u32_e32 v8, vcc, 0, v8, vcc
	v_mul_hi_u32 v12, v5, v10
	v_mul_lo_u32 v10, v5, v10
	v_add_co_u32_e32 v9, vcc, v9, v10
	v_mul_hi_u32 v11, v5, v7
	v_addc_co_u32_e32 v8, vcc, v8, v12, vcc
	v_addc_co_u32_e32 v9, vcc, 0, v11, vcc
	v_mul_lo_u32 v7, v5, v7
	v_add_co_u32_e32 v7, vcc, v8, v7
	v_addc_co_u32_e32 v8, vcc, 0, v9, vcc
	v_add_co_u32_e32 v4, vcc, v4, v7
	v_addc_co_u32_e32 v5, vcc, v5, v8, vcc
	v_mul_lo_u32 v7, s4, v5
	v_mul_hi_u32 v8, s4, v4
	v_add_u32_e32 v7, v8, v7
	v_mul_lo_u32 v8, s5, v4
	v_add_u32_e32 v7, v7, v8
	v_mul_lo_u32 v9, s4, v4
	v_mul_hi_u32 v10, v5, v9
	v_mul_lo_u32 v11, v5, v9
	v_mul_lo_u32 v13, v4, v7
	v_mul_hi_u32 v9, v4, v9
	v_mul_hi_u32 v12, v4, v7
	v_add_co_u32_e32 v9, vcc, v9, v13
	v_addc_co_u32_e32 v12, vcc, 0, v12, vcc
	v_add_co_u32_e32 v9, vcc, v9, v11
	v_mul_hi_u32 v8, v5, v7
	v_addc_co_u32_e32 v9, vcc, v12, v10, vcc
	v_addc_co_u32_e32 v8, vcc, 0, v8, vcc
	v_mul_lo_u32 v7, v5, v7
	v_add_co_u32_e32 v7, vcc, v9, v7
	v_addc_co_u32_e32 v8, vcc, 0, v8, vcc
	v_add_co_u32_e32 v7, vcc, v4, v7
	v_addc_co_u32_e32 v8, vcc, v5, v8, vcc
	v_mad_u64_u32 v[4:5], s[4:5], v1, v8, 0
	v_mul_hi_u32 v9, v1, v7
	v_add_co_u32_e32 v10, vcc, v9, v4
	v_addc_co_u32_e32 v11, vcc, 0, v5, vcc
	v_mad_u64_u32 v[4:5], s[4:5], v6, v8, 0
	v_mad_u64_u32 v[8:9], s[4:5], v6, v7, 0
	v_add_co_u32_e32 v7, vcc, v10, v8
	v_addc_co_u32_e32 v7, vcc, v11, v9, vcc
	v_addc_co_u32_e32 v5, vcc, 0, v5, vcc
	v_add_co_u32_e32 v7, vcc, v7, v4
	v_addc_co_u32_e32 v8, vcc, 0, v5, vcc
	v_mul_lo_u32 v9, s51, v7
	v_mul_lo_u32 v10, s50, v8
	v_mad_u64_u32 v[4:5], s[4:5], s50, v7, 0
	v_add3_u32 v5, v5, v10, v9
	v_sub_u32_e32 v9, v6, v5
	v_mov_b32_e32 v10, s51
	v_sub_co_u32_e32 v1, vcc, v1, v4
	v_subb_co_u32_e64 v4, s[4:5], v9, v10, vcc
	v_subrev_co_u32_e64 v9, s[4:5], s50, v1
	v_subbrev_co_u32_e64 v4, s[4:5], 0, v4, s[4:5]
	v_cmp_le_u32_e64 s[4:5], s51, v4
	v_cndmask_b32_e64 v10, 0, -1, s[4:5]
	v_cmp_le_u32_e64 s[4:5], s50, v9
	v_cndmask_b32_e64 v9, 0, -1, s[4:5]
	v_cmp_eq_u32_e64 s[4:5], s51, v4
	v_cndmask_b32_e64 v4, v10, v9, s[4:5]
	v_add_co_u32_e64 v9, s[4:5], 2, v7
	v_subb_co_u32_e32 v5, vcc, v6, v5, vcc
	v_addc_co_u32_e64 v10, s[4:5], 0, v8, s[4:5]
	v_cmp_le_u32_e32 vcc, s51, v5
	v_add_co_u32_e64 v11, s[4:5], 1, v7
	v_cndmask_b32_e64 v6, 0, -1, vcc
	v_cmp_le_u32_e32 vcc, s50, v1
	v_addc_co_u32_e64 v12, s[4:5], 0, v8, s[4:5]
	v_cndmask_b32_e64 v1, 0, -1, vcc
	v_cmp_eq_u32_e32 vcc, s51, v5
	v_cmp_ne_u32_e64 s[4:5], 0, v4
	v_cndmask_b32_e32 v1, v6, v1, vcc
	v_cndmask_b32_e64 v4, v12, v10, s[4:5]
	v_cmp_ne_u32_e32 vcc, 0, v1
	v_cndmask_b32_e64 v1, v11, v9, s[4:5]
	v_cndmask_b32_e32 v5, v8, v4, vcc
	v_cndmask_b32_e32 v4, v7, v1, vcc
                                        ; implicit-def: $vgpr1
.LBB39_17:
	s_andn2_saveexec_b64 s[4:5], s[12:13]
	s_cbranch_execz .LBB39_19
; %bb.18:
	v_cvt_f32_u32_e32 v4, s50
	s_sub_i32 s12, 0, s50
	v_rcp_iflag_f32_e32 v4, v4
	v_mul_f32_e32 v4, 0x4f7ffffe, v4
	v_cvt_u32_f32_e32 v4, v4
	v_mul_lo_u32 v5, s12, v4
	v_mul_hi_u32 v5, v4, v5
	v_add_u32_e32 v4, v4, v5
	v_mul_hi_u32 v4, v1, v4
	v_mul_lo_u32 v5, v4, s50
	v_sub_u32_e32 v1, v1, v5
	v_add_u32_e32 v6, 1, v4
	v_subrev_u32_e32 v5, s50, v1
	v_cmp_le_u32_e32 vcc, s50, v1
	v_cndmask_b32_e32 v1, v1, v5, vcc
	v_cndmask_b32_e32 v4, v4, v6, vcc
	v_add_u32_e32 v5, 1, v4
	v_cmp_le_u32_e32 vcc, s50, v1
	v_cndmask_b32_e32 v4, v4, v5, vcc
	v_mov_b32_e32 v5, 0
.LBB39_19:
	s_or_b64 exec, exec, s[4:5]
.LBB39_20:
	s_or_b64 exec, exec, s[10:11]
	v_or_b32_e32 v1, 0x200, v0
	v_cmp_gt_u32_e64 s[10:11], s68, v1
	v_pk_mov_b32 v[6:7], v[54:55], v[54:55] op_sel:[0,1]
	s_and_saveexec_b64 s[12:13], s[10:11]
	s_cbranch_execz .LBB39_26
; %bb.21:
	v_mov_b32_e32 v7, s53
	v_add_co_u32_e32 v1, vcc, s52, v1
	v_addc_co_u32_e32 v8, vcc, 0, v7, vcc
	v_mov_b32_e32 v6, 0
	v_or_b32_e32 v7, s51, v8
	v_cmp_ne_u64_e32 vcc, 0, v[6:7]
                                        ; implicit-def: $vgpr6_vgpr7
	s_and_saveexec_b64 s[4:5], vcc
	s_xor_b64 s[14:15], exec, s[4:5]
	s_cbranch_execz .LBB39_23
; %bb.22:
	v_cvt_f32_u32_e32 v6, s50
	v_cvt_f32_u32_e32 v7, s51
	s_sub_u32 s4, 0, s50
	s_subb_u32 s5, 0, s51
	v_madmk_f32 v6, v7, 0x4f800000, v6
	v_rcp_f32_e32 v6, v6
	v_mul_f32_e32 v6, 0x5f7ffffc, v6
	v_mul_f32_e32 v7, 0x2f800000, v6
	v_trunc_f32_e32 v7, v7
	v_madmk_f32 v6, v7, 0xcf800000, v6
	v_cvt_u32_f32_e32 v7, v7
	v_cvt_u32_f32_e32 v6, v6
	v_mul_lo_u32 v9, s4, v7
	v_mul_hi_u32 v11, s4, v6
	v_mul_lo_u32 v10, s5, v6
	v_add_u32_e32 v9, v11, v9
	v_mul_lo_u32 v12, s4, v6
	v_add_u32_e32 v9, v9, v10
	v_mul_hi_u32 v11, v6, v12
	v_mul_lo_u32 v13, v6, v9
	v_mul_hi_u32 v10, v6, v9
	v_add_co_u32_e32 v11, vcc, v11, v13
	v_addc_co_u32_e32 v10, vcc, 0, v10, vcc
	v_mul_hi_u32 v14, v7, v12
	v_mul_lo_u32 v12, v7, v12
	v_add_co_u32_e32 v11, vcc, v11, v12
	v_mul_hi_u32 v13, v7, v9
	v_addc_co_u32_e32 v10, vcc, v10, v14, vcc
	v_addc_co_u32_e32 v11, vcc, 0, v13, vcc
	v_mul_lo_u32 v9, v7, v9
	v_add_co_u32_e32 v9, vcc, v10, v9
	v_addc_co_u32_e32 v10, vcc, 0, v11, vcc
	v_add_co_u32_e32 v6, vcc, v6, v9
	v_addc_co_u32_e32 v7, vcc, v7, v10, vcc
	v_mul_lo_u32 v9, s4, v7
	v_mul_hi_u32 v10, s4, v6
	v_add_u32_e32 v9, v10, v9
	v_mul_lo_u32 v10, s5, v6
	v_add_u32_e32 v9, v9, v10
	v_mul_lo_u32 v11, s4, v6
	v_mul_hi_u32 v12, v7, v11
	v_mul_lo_u32 v13, v7, v11
	v_mul_lo_u32 v15, v6, v9
	v_mul_hi_u32 v11, v6, v11
	v_mul_hi_u32 v14, v6, v9
	v_add_co_u32_e32 v11, vcc, v11, v15
	v_addc_co_u32_e32 v14, vcc, 0, v14, vcc
	v_add_co_u32_e32 v11, vcc, v11, v13
	v_mul_hi_u32 v10, v7, v9
	v_addc_co_u32_e32 v11, vcc, v14, v12, vcc
	v_addc_co_u32_e32 v10, vcc, 0, v10, vcc
	v_mul_lo_u32 v9, v7, v9
	v_add_co_u32_e32 v9, vcc, v11, v9
	v_addc_co_u32_e32 v10, vcc, 0, v10, vcc
	v_add_co_u32_e32 v9, vcc, v6, v9
	v_addc_co_u32_e32 v10, vcc, v7, v10, vcc
	v_mad_u64_u32 v[6:7], s[4:5], v1, v10, 0
	v_mul_hi_u32 v11, v1, v9
	v_add_co_u32_e32 v12, vcc, v11, v6
	v_addc_co_u32_e32 v13, vcc, 0, v7, vcc
	v_mad_u64_u32 v[6:7], s[4:5], v8, v10, 0
	v_mad_u64_u32 v[10:11], s[4:5], v8, v9, 0
	v_add_co_u32_e32 v9, vcc, v12, v10
	v_addc_co_u32_e32 v9, vcc, v13, v11, vcc
	v_addc_co_u32_e32 v7, vcc, 0, v7, vcc
	v_add_co_u32_e32 v9, vcc, v9, v6
	v_addc_co_u32_e32 v10, vcc, 0, v7, vcc
	v_mul_lo_u32 v11, s51, v9
	v_mul_lo_u32 v12, s50, v10
	v_mad_u64_u32 v[6:7], s[4:5], s50, v9, 0
	v_add3_u32 v7, v7, v12, v11
	v_sub_u32_e32 v11, v8, v7
	v_mov_b32_e32 v12, s51
	v_sub_co_u32_e32 v1, vcc, v1, v6
	v_subb_co_u32_e64 v6, s[4:5], v11, v12, vcc
	v_subrev_co_u32_e64 v11, s[4:5], s50, v1
	v_subbrev_co_u32_e64 v6, s[4:5], 0, v6, s[4:5]
	v_cmp_le_u32_e64 s[4:5], s51, v6
	v_cndmask_b32_e64 v12, 0, -1, s[4:5]
	v_cmp_le_u32_e64 s[4:5], s50, v11
	v_cndmask_b32_e64 v11, 0, -1, s[4:5]
	v_cmp_eq_u32_e64 s[4:5], s51, v6
	v_cndmask_b32_e64 v6, v12, v11, s[4:5]
	v_add_co_u32_e64 v11, s[4:5], 2, v9
	v_subb_co_u32_e32 v7, vcc, v8, v7, vcc
	v_addc_co_u32_e64 v12, s[4:5], 0, v10, s[4:5]
	v_cmp_le_u32_e32 vcc, s51, v7
	v_add_co_u32_e64 v13, s[4:5], 1, v9
	v_cndmask_b32_e64 v8, 0, -1, vcc
	v_cmp_le_u32_e32 vcc, s50, v1
	v_addc_co_u32_e64 v14, s[4:5], 0, v10, s[4:5]
	v_cndmask_b32_e64 v1, 0, -1, vcc
	v_cmp_eq_u32_e32 vcc, s51, v7
	v_cmp_ne_u32_e64 s[4:5], 0, v6
	v_cndmask_b32_e32 v1, v8, v1, vcc
	v_cndmask_b32_e64 v6, v14, v12, s[4:5]
	v_cmp_ne_u32_e32 vcc, 0, v1
	v_cndmask_b32_e64 v1, v13, v11, s[4:5]
	v_cndmask_b32_e32 v7, v10, v6, vcc
	v_cndmask_b32_e32 v6, v9, v1, vcc
                                        ; implicit-def: $vgpr1
.LBB39_23:
	s_andn2_saveexec_b64 s[4:5], s[14:15]
	s_cbranch_execz .LBB39_25
; %bb.24:
	v_cvt_f32_u32_e32 v6, s50
	s_sub_i32 s14, 0, s50
	v_rcp_iflag_f32_e32 v6, v6
	v_mul_f32_e32 v6, 0x4f7ffffe, v6
	v_cvt_u32_f32_e32 v6, v6
	v_mul_lo_u32 v7, s14, v6
	v_mul_hi_u32 v7, v6, v7
	v_add_u32_e32 v6, v6, v7
	v_mul_hi_u32 v6, v1, v6
	v_mul_lo_u32 v7, v6, s50
	v_sub_u32_e32 v1, v1, v7
	v_add_u32_e32 v8, 1, v6
	v_subrev_u32_e32 v7, s50, v1
	v_cmp_le_u32_e32 vcc, s50, v1
	v_cndmask_b32_e32 v1, v1, v7, vcc
	v_cndmask_b32_e32 v6, v6, v8, vcc
	v_add_u32_e32 v7, 1, v6
	v_cmp_le_u32_e32 vcc, s50, v1
	v_cndmask_b32_e32 v6, v6, v7, vcc
	v_mov_b32_e32 v7, 0
.LBB39_25:
	s_or_b64 exec, exec, s[4:5]
.LBB39_26:
	s_or_b64 exec, exec, s[12:13]
	v_or_b32_e32 v1, 0x300, v0
	v_cmp_gt_u32_e64 s[12:13], s68, v1
	v_pk_mov_b32 v[8:9], v[54:55], v[54:55] op_sel:[0,1]
	s_and_saveexec_b64 s[14:15], s[12:13]
	s_cbranch_execz .LBB39_32
; %bb.27:
	v_mov_b32_e32 v9, s53
	v_add_co_u32_e32 v1, vcc, s52, v1
	v_addc_co_u32_e32 v10, vcc, 0, v9, vcc
	v_mov_b32_e32 v8, 0
	v_or_b32_e32 v9, s51, v10
	v_cmp_ne_u64_e32 vcc, 0, v[8:9]
                                        ; implicit-def: $vgpr8_vgpr9
	s_and_saveexec_b64 s[4:5], vcc
	s_xor_b64 s[16:17], exec, s[4:5]
	s_cbranch_execz .LBB39_29
; %bb.28:
	v_cvt_f32_u32_e32 v8, s50
	v_cvt_f32_u32_e32 v9, s51
	s_sub_u32 s4, 0, s50
	s_subb_u32 s5, 0, s51
	v_madmk_f32 v8, v9, 0x4f800000, v8
	v_rcp_f32_e32 v8, v8
	v_mul_f32_e32 v8, 0x5f7ffffc, v8
	v_mul_f32_e32 v9, 0x2f800000, v8
	v_trunc_f32_e32 v9, v9
	v_madmk_f32 v8, v9, 0xcf800000, v8
	v_cvt_u32_f32_e32 v9, v9
	v_cvt_u32_f32_e32 v8, v8
	v_mul_lo_u32 v11, s4, v9
	v_mul_hi_u32 v13, s4, v8
	v_mul_lo_u32 v12, s5, v8
	v_add_u32_e32 v11, v13, v11
	v_mul_lo_u32 v14, s4, v8
	v_add_u32_e32 v11, v11, v12
	v_mul_hi_u32 v13, v8, v14
	v_mul_lo_u32 v15, v8, v11
	v_mul_hi_u32 v12, v8, v11
	v_add_co_u32_e32 v13, vcc, v13, v15
	v_addc_co_u32_e32 v12, vcc, 0, v12, vcc
	v_mul_hi_u32 v16, v9, v14
	v_mul_lo_u32 v14, v9, v14
	v_add_co_u32_e32 v13, vcc, v13, v14
	v_mul_hi_u32 v15, v9, v11
	v_addc_co_u32_e32 v12, vcc, v12, v16, vcc
	v_addc_co_u32_e32 v13, vcc, 0, v15, vcc
	v_mul_lo_u32 v11, v9, v11
	v_add_co_u32_e32 v11, vcc, v12, v11
	v_addc_co_u32_e32 v12, vcc, 0, v13, vcc
	v_add_co_u32_e32 v8, vcc, v8, v11
	v_addc_co_u32_e32 v9, vcc, v9, v12, vcc
	v_mul_lo_u32 v11, s4, v9
	v_mul_hi_u32 v12, s4, v8
	v_add_u32_e32 v11, v12, v11
	v_mul_lo_u32 v12, s5, v8
	v_add_u32_e32 v11, v11, v12
	v_mul_lo_u32 v13, s4, v8
	v_mul_hi_u32 v14, v9, v13
	v_mul_lo_u32 v15, v9, v13
	v_mul_lo_u32 v17, v8, v11
	v_mul_hi_u32 v13, v8, v13
	v_mul_hi_u32 v16, v8, v11
	v_add_co_u32_e32 v13, vcc, v13, v17
	v_addc_co_u32_e32 v16, vcc, 0, v16, vcc
	v_add_co_u32_e32 v13, vcc, v13, v15
	v_mul_hi_u32 v12, v9, v11
	v_addc_co_u32_e32 v13, vcc, v16, v14, vcc
	v_addc_co_u32_e32 v12, vcc, 0, v12, vcc
	v_mul_lo_u32 v11, v9, v11
	v_add_co_u32_e32 v11, vcc, v13, v11
	v_addc_co_u32_e32 v12, vcc, 0, v12, vcc
	v_add_co_u32_e32 v11, vcc, v8, v11
	v_addc_co_u32_e32 v12, vcc, v9, v12, vcc
	v_mad_u64_u32 v[8:9], s[4:5], v1, v12, 0
	v_mul_hi_u32 v13, v1, v11
	v_add_co_u32_e32 v14, vcc, v13, v8
	v_addc_co_u32_e32 v15, vcc, 0, v9, vcc
	v_mad_u64_u32 v[8:9], s[4:5], v10, v12, 0
	v_mad_u64_u32 v[12:13], s[4:5], v10, v11, 0
	v_add_co_u32_e32 v11, vcc, v14, v12
	v_addc_co_u32_e32 v11, vcc, v15, v13, vcc
	v_addc_co_u32_e32 v9, vcc, 0, v9, vcc
	v_add_co_u32_e32 v11, vcc, v11, v8
	v_addc_co_u32_e32 v12, vcc, 0, v9, vcc
	v_mul_lo_u32 v13, s51, v11
	v_mul_lo_u32 v14, s50, v12
	v_mad_u64_u32 v[8:9], s[4:5], s50, v11, 0
	v_add3_u32 v9, v9, v14, v13
	v_sub_u32_e32 v13, v10, v9
	v_mov_b32_e32 v14, s51
	v_sub_co_u32_e32 v1, vcc, v1, v8
	v_subb_co_u32_e64 v8, s[4:5], v13, v14, vcc
	v_subrev_co_u32_e64 v13, s[4:5], s50, v1
	v_subbrev_co_u32_e64 v8, s[4:5], 0, v8, s[4:5]
	v_cmp_le_u32_e64 s[4:5], s51, v8
	v_cndmask_b32_e64 v14, 0, -1, s[4:5]
	v_cmp_le_u32_e64 s[4:5], s50, v13
	v_cndmask_b32_e64 v13, 0, -1, s[4:5]
	v_cmp_eq_u32_e64 s[4:5], s51, v8
	v_cndmask_b32_e64 v8, v14, v13, s[4:5]
	v_add_co_u32_e64 v13, s[4:5], 2, v11
	v_subb_co_u32_e32 v9, vcc, v10, v9, vcc
	v_addc_co_u32_e64 v14, s[4:5], 0, v12, s[4:5]
	v_cmp_le_u32_e32 vcc, s51, v9
	v_add_co_u32_e64 v15, s[4:5], 1, v11
	v_cndmask_b32_e64 v10, 0, -1, vcc
	v_cmp_le_u32_e32 vcc, s50, v1
	v_addc_co_u32_e64 v16, s[4:5], 0, v12, s[4:5]
	v_cndmask_b32_e64 v1, 0, -1, vcc
	v_cmp_eq_u32_e32 vcc, s51, v9
	v_cmp_ne_u32_e64 s[4:5], 0, v8
	v_cndmask_b32_e32 v1, v10, v1, vcc
	v_cndmask_b32_e64 v8, v16, v14, s[4:5]
	v_cmp_ne_u32_e32 vcc, 0, v1
	v_cndmask_b32_e64 v1, v15, v13, s[4:5]
	v_cndmask_b32_e32 v9, v12, v8, vcc
	v_cndmask_b32_e32 v8, v11, v1, vcc
                                        ; implicit-def: $vgpr1
.LBB39_29:
	s_andn2_saveexec_b64 s[4:5], s[16:17]
	s_cbranch_execz .LBB39_31
; %bb.30:
	v_cvt_f32_u32_e32 v8, s50
	s_sub_i32 s16, 0, s50
	v_rcp_iflag_f32_e32 v8, v8
	v_mul_f32_e32 v8, 0x4f7ffffe, v8
	v_cvt_u32_f32_e32 v8, v8
	v_mul_lo_u32 v9, s16, v8
	v_mul_hi_u32 v9, v8, v9
	v_add_u32_e32 v8, v8, v9
	v_mul_hi_u32 v8, v1, v8
	v_mul_lo_u32 v9, v8, s50
	v_sub_u32_e32 v1, v1, v9
	v_add_u32_e32 v10, 1, v8
	v_subrev_u32_e32 v9, s50, v1
	v_cmp_le_u32_e32 vcc, s50, v1
	v_cndmask_b32_e32 v1, v1, v9, vcc
	v_cndmask_b32_e32 v8, v8, v10, vcc
	v_add_u32_e32 v9, 1, v8
	v_cmp_le_u32_e32 vcc, s50, v1
	v_cndmask_b32_e32 v8, v8, v9, vcc
	v_mov_b32_e32 v9, 0
.LBB39_31:
	s_or_b64 exec, exec, s[4:5]
.LBB39_32:
	s_or_b64 exec, exec, s[14:15]
	v_or_b32_e32 v1, 0x400, v0
	v_cmp_gt_u32_e64 s[14:15], s68, v1
	v_pk_mov_b32 v[10:11], v[54:55], v[54:55] op_sel:[0,1]
	s_and_saveexec_b64 s[16:17], s[14:15]
	s_cbranch_execz .LBB39_38
; %bb.33:
	v_mov_b32_e32 v11, s53
	v_add_co_u32_e32 v12, vcc, s52, v1
	v_addc_co_u32_e32 v13, vcc, 0, v11, vcc
	v_mov_b32_e32 v10, 0
	v_or_b32_e32 v11, s51, v13
	v_cmp_ne_u64_e32 vcc, 0, v[10:11]
                                        ; implicit-def: $vgpr10_vgpr11
	s_and_saveexec_b64 s[4:5], vcc
	s_xor_b64 s[18:19], exec, s[4:5]
	s_cbranch_execz .LBB39_35
; %bb.34:
	v_cvt_f32_u32_e32 v10, s50
	v_cvt_f32_u32_e32 v11, s51
	s_sub_u32 s4, 0, s50
	s_subb_u32 s5, 0, s51
	v_madmk_f32 v10, v11, 0x4f800000, v10
	v_rcp_f32_e32 v10, v10
	v_mul_f32_e32 v10, 0x5f7ffffc, v10
	v_mul_f32_e32 v11, 0x2f800000, v10
	v_trunc_f32_e32 v11, v11
	v_madmk_f32 v10, v11, 0xcf800000, v10
	v_cvt_u32_f32_e32 v11, v11
	v_cvt_u32_f32_e32 v10, v10
	v_mul_lo_u32 v14, s4, v11
	v_mul_hi_u32 v16, s4, v10
	v_mul_lo_u32 v15, s5, v10
	v_add_u32_e32 v14, v16, v14
	v_mul_lo_u32 v17, s4, v10
	v_add_u32_e32 v14, v14, v15
	v_mul_hi_u32 v16, v10, v17
	v_mul_lo_u32 v18, v10, v14
	v_mul_hi_u32 v15, v10, v14
	v_add_co_u32_e32 v16, vcc, v16, v18
	v_addc_co_u32_e32 v15, vcc, 0, v15, vcc
	v_mul_hi_u32 v19, v11, v17
	v_mul_lo_u32 v17, v11, v17
	v_add_co_u32_e32 v16, vcc, v16, v17
	v_mul_hi_u32 v18, v11, v14
	v_addc_co_u32_e32 v15, vcc, v15, v19, vcc
	v_addc_co_u32_e32 v16, vcc, 0, v18, vcc
	v_mul_lo_u32 v14, v11, v14
	v_add_co_u32_e32 v14, vcc, v15, v14
	v_addc_co_u32_e32 v15, vcc, 0, v16, vcc
	v_add_co_u32_e32 v10, vcc, v10, v14
	v_addc_co_u32_e32 v11, vcc, v11, v15, vcc
	v_mul_lo_u32 v14, s4, v11
	v_mul_hi_u32 v15, s4, v10
	v_add_u32_e32 v14, v15, v14
	v_mul_lo_u32 v15, s5, v10
	v_add_u32_e32 v14, v14, v15
	v_mul_lo_u32 v16, s4, v10
	v_mul_hi_u32 v17, v11, v16
	v_mul_lo_u32 v18, v11, v16
	v_mul_lo_u32 v20, v10, v14
	v_mul_hi_u32 v16, v10, v16
	v_mul_hi_u32 v19, v10, v14
	v_add_co_u32_e32 v16, vcc, v16, v20
	v_addc_co_u32_e32 v19, vcc, 0, v19, vcc
	v_add_co_u32_e32 v16, vcc, v16, v18
	v_mul_hi_u32 v15, v11, v14
	v_addc_co_u32_e32 v16, vcc, v19, v17, vcc
	v_addc_co_u32_e32 v15, vcc, 0, v15, vcc
	v_mul_lo_u32 v14, v11, v14
	v_add_co_u32_e32 v14, vcc, v16, v14
	v_addc_co_u32_e32 v15, vcc, 0, v15, vcc
	v_add_co_u32_e32 v14, vcc, v10, v14
	v_addc_co_u32_e32 v15, vcc, v11, v15, vcc
	v_mad_u64_u32 v[10:11], s[4:5], v12, v15, 0
	v_mul_hi_u32 v16, v12, v14
	v_add_co_u32_e32 v16, vcc, v16, v10
	v_addc_co_u32_e32 v17, vcc, 0, v11, vcc
	v_mad_u64_u32 v[10:11], s[4:5], v13, v15, 0
	v_mad_u64_u32 v[14:15], s[4:5], v13, v14, 0
	v_add_co_u32_e32 v14, vcc, v16, v14
	v_addc_co_u32_e32 v14, vcc, v17, v15, vcc
	v_addc_co_u32_e32 v11, vcc, 0, v11, vcc
	v_add_co_u32_e32 v14, vcc, v14, v10
	v_addc_co_u32_e32 v15, vcc, 0, v11, vcc
	v_mul_lo_u32 v16, s51, v14
	v_mul_lo_u32 v17, s50, v15
	v_mad_u64_u32 v[10:11], s[4:5], s50, v14, 0
	v_add3_u32 v11, v11, v17, v16
	v_sub_u32_e32 v16, v13, v11
	v_mov_b32_e32 v17, s51
	v_sub_co_u32_e32 v10, vcc, v12, v10
	v_subb_co_u32_e64 v12, s[4:5], v16, v17, vcc
	v_subrev_co_u32_e64 v16, s[4:5], s50, v10
	v_subbrev_co_u32_e64 v12, s[4:5], 0, v12, s[4:5]
	v_cmp_le_u32_e64 s[4:5], s51, v12
	v_cndmask_b32_e64 v17, 0, -1, s[4:5]
	v_cmp_le_u32_e64 s[4:5], s50, v16
	v_cndmask_b32_e64 v16, 0, -1, s[4:5]
	v_cmp_eq_u32_e64 s[4:5], s51, v12
	v_cndmask_b32_e64 v12, v17, v16, s[4:5]
	v_add_co_u32_e64 v16, s[4:5], 2, v14
	v_subb_co_u32_e32 v11, vcc, v13, v11, vcc
	v_addc_co_u32_e64 v17, s[4:5], 0, v15, s[4:5]
	v_cmp_le_u32_e32 vcc, s51, v11
	v_add_co_u32_e64 v18, s[4:5], 1, v14
	v_cndmask_b32_e64 v13, 0, -1, vcc
	v_cmp_le_u32_e32 vcc, s50, v10
	v_addc_co_u32_e64 v19, s[4:5], 0, v15, s[4:5]
	v_cndmask_b32_e64 v10, 0, -1, vcc
	v_cmp_eq_u32_e32 vcc, s51, v11
	v_cmp_ne_u32_e64 s[4:5], 0, v12
	v_cndmask_b32_e32 v10, v13, v10, vcc
	v_cndmask_b32_e64 v12, v19, v17, s[4:5]
	v_cmp_ne_u32_e32 vcc, 0, v10
	v_cndmask_b32_e64 v10, v18, v16, s[4:5]
	v_cndmask_b32_e32 v11, v15, v12, vcc
	v_cndmask_b32_e32 v10, v14, v10, vcc
                                        ; implicit-def: $vgpr12
.LBB39_35:
	s_andn2_saveexec_b64 s[4:5], s[18:19]
	s_cbranch_execz .LBB39_37
; %bb.36:
	v_cvt_f32_u32_e32 v10, s50
	s_sub_i32 s18, 0, s50
	v_rcp_iflag_f32_e32 v10, v10
	v_mul_f32_e32 v10, 0x4f7ffffe, v10
	v_cvt_u32_f32_e32 v10, v10
	v_mul_lo_u32 v11, s18, v10
	v_mul_hi_u32 v11, v10, v11
	v_add_u32_e32 v10, v10, v11
	v_mul_hi_u32 v10, v12, v10
	v_mul_lo_u32 v11, v10, s50
	v_sub_u32_e32 v11, v12, v11
	v_add_u32_e32 v13, 1, v10
	v_subrev_u32_e32 v12, s50, v11
	v_cmp_le_u32_e32 vcc, s50, v11
	v_cndmask_b32_e32 v11, v11, v12, vcc
	v_cndmask_b32_e32 v10, v10, v13, vcc
	v_add_u32_e32 v12, 1, v10
	v_cmp_le_u32_e32 vcc, s50, v11
	v_cndmask_b32_e32 v10, v10, v12, vcc
	v_mov_b32_e32 v11, 0
.LBB39_37:
	s_or_b64 exec, exec, s[4:5]
.LBB39_38:
	s_or_b64 exec, exec, s[16:17]
	v_or_b32_e32 v56, 0x500, v0
	v_cmp_gt_u32_e64 s[16:17], s68, v56
	v_pk_mov_b32 v[12:13], v[54:55], v[54:55] op_sel:[0,1]
	s_and_saveexec_b64 s[18:19], s[16:17]
	s_cbranch_execz .LBB39_44
; %bb.39:
	v_mov_b32_e32 v13, s53
	v_add_co_u32_e32 v14, vcc, s52, v56
	v_addc_co_u32_e32 v15, vcc, 0, v13, vcc
	v_mov_b32_e32 v12, 0
	v_or_b32_e32 v13, s51, v15
	v_cmp_ne_u64_e32 vcc, 0, v[12:13]
                                        ; implicit-def: $vgpr12_vgpr13
	s_and_saveexec_b64 s[4:5], vcc
	s_xor_b64 s[20:21], exec, s[4:5]
	s_cbranch_execz .LBB39_41
; %bb.40:
	v_cvt_f32_u32_e32 v12, s50
	v_cvt_f32_u32_e32 v13, s51
	s_sub_u32 s4, 0, s50
	s_subb_u32 s5, 0, s51
	v_madmk_f32 v12, v13, 0x4f800000, v12
	v_rcp_f32_e32 v12, v12
	v_mul_f32_e32 v12, 0x5f7ffffc, v12
	v_mul_f32_e32 v13, 0x2f800000, v12
	v_trunc_f32_e32 v13, v13
	v_madmk_f32 v12, v13, 0xcf800000, v12
	v_cvt_u32_f32_e32 v13, v13
	v_cvt_u32_f32_e32 v12, v12
	v_mul_lo_u32 v16, s4, v13
	v_mul_hi_u32 v18, s4, v12
	v_mul_lo_u32 v17, s5, v12
	v_add_u32_e32 v16, v18, v16
	v_mul_lo_u32 v19, s4, v12
	v_add_u32_e32 v16, v16, v17
	v_mul_hi_u32 v18, v12, v19
	v_mul_lo_u32 v20, v12, v16
	v_mul_hi_u32 v17, v12, v16
	v_add_co_u32_e32 v18, vcc, v18, v20
	v_addc_co_u32_e32 v17, vcc, 0, v17, vcc
	v_mul_hi_u32 v21, v13, v19
	v_mul_lo_u32 v19, v13, v19
	v_add_co_u32_e32 v18, vcc, v18, v19
	v_mul_hi_u32 v20, v13, v16
	v_addc_co_u32_e32 v17, vcc, v17, v21, vcc
	v_addc_co_u32_e32 v18, vcc, 0, v20, vcc
	v_mul_lo_u32 v16, v13, v16
	v_add_co_u32_e32 v16, vcc, v17, v16
	v_addc_co_u32_e32 v17, vcc, 0, v18, vcc
	v_add_co_u32_e32 v12, vcc, v12, v16
	v_addc_co_u32_e32 v13, vcc, v13, v17, vcc
	v_mul_lo_u32 v16, s4, v13
	v_mul_hi_u32 v17, s4, v12
	v_add_u32_e32 v16, v17, v16
	v_mul_lo_u32 v17, s5, v12
	v_add_u32_e32 v16, v16, v17
	v_mul_lo_u32 v18, s4, v12
	v_mul_hi_u32 v19, v13, v18
	v_mul_lo_u32 v20, v13, v18
	v_mul_lo_u32 v22, v12, v16
	v_mul_hi_u32 v18, v12, v18
	v_mul_hi_u32 v21, v12, v16
	v_add_co_u32_e32 v18, vcc, v18, v22
	v_addc_co_u32_e32 v21, vcc, 0, v21, vcc
	v_add_co_u32_e32 v18, vcc, v18, v20
	v_mul_hi_u32 v17, v13, v16
	v_addc_co_u32_e32 v18, vcc, v21, v19, vcc
	v_addc_co_u32_e32 v17, vcc, 0, v17, vcc
	v_mul_lo_u32 v16, v13, v16
	v_add_co_u32_e32 v16, vcc, v18, v16
	v_addc_co_u32_e32 v17, vcc, 0, v17, vcc
	v_add_co_u32_e32 v16, vcc, v12, v16
	v_addc_co_u32_e32 v17, vcc, v13, v17, vcc
	v_mad_u64_u32 v[12:13], s[4:5], v14, v17, 0
	v_mul_hi_u32 v18, v14, v16
	v_add_co_u32_e32 v18, vcc, v18, v12
	v_addc_co_u32_e32 v19, vcc, 0, v13, vcc
	v_mad_u64_u32 v[12:13], s[4:5], v15, v17, 0
	v_mad_u64_u32 v[16:17], s[4:5], v15, v16, 0
	v_add_co_u32_e32 v16, vcc, v18, v16
	v_addc_co_u32_e32 v16, vcc, v19, v17, vcc
	v_addc_co_u32_e32 v13, vcc, 0, v13, vcc
	v_add_co_u32_e32 v16, vcc, v16, v12
	v_addc_co_u32_e32 v17, vcc, 0, v13, vcc
	v_mul_lo_u32 v18, s51, v16
	v_mul_lo_u32 v19, s50, v17
	v_mad_u64_u32 v[12:13], s[4:5], s50, v16, 0
	v_add3_u32 v13, v13, v19, v18
	v_sub_u32_e32 v18, v15, v13
	v_mov_b32_e32 v19, s51
	v_sub_co_u32_e32 v12, vcc, v14, v12
	v_subb_co_u32_e64 v14, s[4:5], v18, v19, vcc
	v_subrev_co_u32_e64 v18, s[4:5], s50, v12
	v_subbrev_co_u32_e64 v14, s[4:5], 0, v14, s[4:5]
	v_cmp_le_u32_e64 s[4:5], s51, v14
	v_cndmask_b32_e64 v19, 0, -1, s[4:5]
	v_cmp_le_u32_e64 s[4:5], s50, v18
	v_cndmask_b32_e64 v18, 0, -1, s[4:5]
	v_cmp_eq_u32_e64 s[4:5], s51, v14
	v_cndmask_b32_e64 v14, v19, v18, s[4:5]
	v_add_co_u32_e64 v18, s[4:5], 2, v16
	v_subb_co_u32_e32 v13, vcc, v15, v13, vcc
	v_addc_co_u32_e64 v19, s[4:5], 0, v17, s[4:5]
	v_cmp_le_u32_e32 vcc, s51, v13
	v_add_co_u32_e64 v20, s[4:5], 1, v16
	v_cndmask_b32_e64 v15, 0, -1, vcc
	v_cmp_le_u32_e32 vcc, s50, v12
	v_addc_co_u32_e64 v21, s[4:5], 0, v17, s[4:5]
	v_cndmask_b32_e64 v12, 0, -1, vcc
	v_cmp_eq_u32_e32 vcc, s51, v13
	v_cmp_ne_u32_e64 s[4:5], 0, v14
	v_cndmask_b32_e32 v12, v15, v12, vcc
	v_cndmask_b32_e64 v14, v21, v19, s[4:5]
	v_cmp_ne_u32_e32 vcc, 0, v12
	v_cndmask_b32_e64 v12, v20, v18, s[4:5]
	v_cndmask_b32_e32 v13, v17, v14, vcc
	v_cndmask_b32_e32 v12, v16, v12, vcc
                                        ; implicit-def: $vgpr14
.LBB39_41:
	s_andn2_saveexec_b64 s[4:5], s[20:21]
	s_cbranch_execz .LBB39_43
; %bb.42:
	v_cvt_f32_u32_e32 v12, s50
	s_sub_i32 s20, 0, s50
	v_rcp_iflag_f32_e32 v12, v12
	v_mul_f32_e32 v12, 0x4f7ffffe, v12
	v_cvt_u32_f32_e32 v12, v12
	v_mul_lo_u32 v13, s20, v12
	v_mul_hi_u32 v13, v12, v13
	v_add_u32_e32 v12, v12, v13
	v_mul_hi_u32 v12, v14, v12
	v_mul_lo_u32 v13, v12, s50
	v_sub_u32_e32 v13, v14, v13
	v_add_u32_e32 v15, 1, v12
	v_subrev_u32_e32 v14, s50, v13
	v_cmp_le_u32_e32 vcc, s50, v13
	v_cndmask_b32_e32 v13, v13, v14, vcc
	v_cndmask_b32_e32 v12, v12, v15, vcc
	v_add_u32_e32 v14, 1, v12
	v_cmp_le_u32_e32 vcc, s50, v13
	v_cndmask_b32_e32 v12, v12, v14, vcc
	v_mov_b32_e32 v13, 0
.LBB39_43:
	s_or_b64 exec, exec, s[4:5]
.LBB39_44:
	s_or_b64 exec, exec, s[18:19]
	v_or_b32_e32 v57, 0x600, v0
	v_cmp_gt_u32_e64 s[18:19], s68, v57
	v_pk_mov_b32 v[14:15], v[54:55], v[54:55] op_sel:[0,1]
	s_and_saveexec_b64 s[20:21], s[18:19]
	s_cbranch_execz .LBB39_50
; %bb.45:
	v_mov_b32_e32 v15, s53
	v_add_co_u32_e32 v16, vcc, s52, v57
	v_addc_co_u32_e32 v17, vcc, 0, v15, vcc
	v_mov_b32_e32 v14, 0
	v_or_b32_e32 v15, s51, v17
	v_cmp_ne_u64_e32 vcc, 0, v[14:15]
                                        ; implicit-def: $vgpr14_vgpr15
	s_and_saveexec_b64 s[4:5], vcc
	s_xor_b64 s[22:23], exec, s[4:5]
	s_cbranch_execz .LBB39_47
; %bb.46:
	v_cvt_f32_u32_e32 v14, s50
	v_cvt_f32_u32_e32 v15, s51
	s_sub_u32 s4, 0, s50
	s_subb_u32 s5, 0, s51
	v_madmk_f32 v14, v15, 0x4f800000, v14
	v_rcp_f32_e32 v14, v14
	v_mul_f32_e32 v14, 0x5f7ffffc, v14
	v_mul_f32_e32 v15, 0x2f800000, v14
	v_trunc_f32_e32 v15, v15
	v_madmk_f32 v14, v15, 0xcf800000, v14
	v_cvt_u32_f32_e32 v15, v15
	v_cvt_u32_f32_e32 v14, v14
	v_mul_lo_u32 v18, s4, v15
	v_mul_hi_u32 v20, s4, v14
	v_mul_lo_u32 v19, s5, v14
	v_add_u32_e32 v18, v20, v18
	v_mul_lo_u32 v21, s4, v14
	v_add_u32_e32 v18, v18, v19
	v_mul_hi_u32 v20, v14, v21
	v_mul_lo_u32 v22, v14, v18
	v_mul_hi_u32 v19, v14, v18
	v_add_co_u32_e32 v20, vcc, v20, v22
	v_addc_co_u32_e32 v19, vcc, 0, v19, vcc
	v_mul_hi_u32 v23, v15, v21
	v_mul_lo_u32 v21, v15, v21
	v_add_co_u32_e32 v20, vcc, v20, v21
	v_mul_hi_u32 v22, v15, v18
	v_addc_co_u32_e32 v19, vcc, v19, v23, vcc
	v_addc_co_u32_e32 v20, vcc, 0, v22, vcc
	v_mul_lo_u32 v18, v15, v18
	v_add_co_u32_e32 v18, vcc, v19, v18
	v_addc_co_u32_e32 v19, vcc, 0, v20, vcc
	v_add_co_u32_e32 v14, vcc, v14, v18
	v_addc_co_u32_e32 v15, vcc, v15, v19, vcc
	v_mul_lo_u32 v18, s4, v15
	v_mul_hi_u32 v19, s4, v14
	v_add_u32_e32 v18, v19, v18
	v_mul_lo_u32 v19, s5, v14
	v_add_u32_e32 v18, v18, v19
	v_mul_lo_u32 v20, s4, v14
	v_mul_hi_u32 v21, v15, v20
	v_mul_lo_u32 v22, v15, v20
	v_mul_lo_u32 v24, v14, v18
	v_mul_hi_u32 v20, v14, v20
	v_mul_hi_u32 v23, v14, v18
	v_add_co_u32_e32 v20, vcc, v20, v24
	v_addc_co_u32_e32 v23, vcc, 0, v23, vcc
	v_add_co_u32_e32 v20, vcc, v20, v22
	v_mul_hi_u32 v19, v15, v18
	v_addc_co_u32_e32 v20, vcc, v23, v21, vcc
	v_addc_co_u32_e32 v19, vcc, 0, v19, vcc
	v_mul_lo_u32 v18, v15, v18
	v_add_co_u32_e32 v18, vcc, v20, v18
	v_addc_co_u32_e32 v19, vcc, 0, v19, vcc
	v_add_co_u32_e32 v18, vcc, v14, v18
	v_addc_co_u32_e32 v19, vcc, v15, v19, vcc
	v_mad_u64_u32 v[14:15], s[4:5], v16, v19, 0
	v_mul_hi_u32 v20, v16, v18
	v_add_co_u32_e32 v20, vcc, v20, v14
	v_addc_co_u32_e32 v21, vcc, 0, v15, vcc
	v_mad_u64_u32 v[14:15], s[4:5], v17, v19, 0
	v_mad_u64_u32 v[18:19], s[4:5], v17, v18, 0
	v_add_co_u32_e32 v18, vcc, v20, v18
	v_addc_co_u32_e32 v18, vcc, v21, v19, vcc
	v_addc_co_u32_e32 v15, vcc, 0, v15, vcc
	v_add_co_u32_e32 v18, vcc, v18, v14
	v_addc_co_u32_e32 v19, vcc, 0, v15, vcc
	v_mul_lo_u32 v20, s51, v18
	v_mul_lo_u32 v21, s50, v19
	v_mad_u64_u32 v[14:15], s[4:5], s50, v18, 0
	v_add3_u32 v15, v15, v21, v20
	v_sub_u32_e32 v20, v17, v15
	v_mov_b32_e32 v21, s51
	v_sub_co_u32_e32 v14, vcc, v16, v14
	v_subb_co_u32_e64 v16, s[4:5], v20, v21, vcc
	v_subrev_co_u32_e64 v20, s[4:5], s50, v14
	v_subbrev_co_u32_e64 v16, s[4:5], 0, v16, s[4:5]
	v_cmp_le_u32_e64 s[4:5], s51, v16
	v_cndmask_b32_e64 v21, 0, -1, s[4:5]
	v_cmp_le_u32_e64 s[4:5], s50, v20
	v_cndmask_b32_e64 v20, 0, -1, s[4:5]
	v_cmp_eq_u32_e64 s[4:5], s51, v16
	v_cndmask_b32_e64 v16, v21, v20, s[4:5]
	v_add_co_u32_e64 v20, s[4:5], 2, v18
	v_subb_co_u32_e32 v15, vcc, v17, v15, vcc
	v_addc_co_u32_e64 v21, s[4:5], 0, v19, s[4:5]
	v_cmp_le_u32_e32 vcc, s51, v15
	v_add_co_u32_e64 v22, s[4:5], 1, v18
	v_cndmask_b32_e64 v17, 0, -1, vcc
	v_cmp_le_u32_e32 vcc, s50, v14
	v_addc_co_u32_e64 v23, s[4:5], 0, v19, s[4:5]
	v_cndmask_b32_e64 v14, 0, -1, vcc
	v_cmp_eq_u32_e32 vcc, s51, v15
	v_cmp_ne_u32_e64 s[4:5], 0, v16
	v_cndmask_b32_e32 v14, v17, v14, vcc
	v_cndmask_b32_e64 v16, v23, v21, s[4:5]
	v_cmp_ne_u32_e32 vcc, 0, v14
	v_cndmask_b32_e64 v14, v22, v20, s[4:5]
	v_cndmask_b32_e32 v15, v19, v16, vcc
	v_cndmask_b32_e32 v14, v18, v14, vcc
                                        ; implicit-def: $vgpr16
.LBB39_47:
	s_andn2_saveexec_b64 s[4:5], s[22:23]
	s_cbranch_execz .LBB39_49
; %bb.48:
	v_cvt_f32_u32_e32 v14, s50
	s_sub_i32 s22, 0, s50
	v_rcp_iflag_f32_e32 v14, v14
	v_mul_f32_e32 v14, 0x4f7ffffe, v14
	v_cvt_u32_f32_e32 v14, v14
	v_mul_lo_u32 v15, s22, v14
	v_mul_hi_u32 v15, v14, v15
	v_add_u32_e32 v14, v14, v15
	v_mul_hi_u32 v14, v16, v14
	v_mul_lo_u32 v15, v14, s50
	v_sub_u32_e32 v15, v16, v15
	v_add_u32_e32 v17, 1, v14
	v_subrev_u32_e32 v16, s50, v15
	v_cmp_le_u32_e32 vcc, s50, v15
	v_cndmask_b32_e32 v15, v15, v16, vcc
	v_cndmask_b32_e32 v14, v14, v17, vcc
	v_add_u32_e32 v16, 1, v14
	v_cmp_le_u32_e32 vcc, s50, v15
	v_cndmask_b32_e32 v14, v14, v16, vcc
	v_mov_b32_e32 v15, 0
.LBB39_49:
	s_or_b64 exec, exec, s[4:5]
.LBB39_50:
	s_or_b64 exec, exec, s[20:21]
	v_or_b32_e32 v58, 0x700, v0
	v_cmp_gt_u32_e64 s[20:21], s68, v58
	v_pk_mov_b32 v[16:17], v[54:55], v[54:55] op_sel:[0,1]
	s_and_saveexec_b64 s[22:23], s[20:21]
	s_cbranch_execz .LBB39_56
; %bb.51:
	v_mov_b32_e32 v17, s53
	v_add_co_u32_e32 v18, vcc, s52, v58
	v_addc_co_u32_e32 v19, vcc, 0, v17, vcc
	v_mov_b32_e32 v16, 0
	v_or_b32_e32 v17, s51, v19
	v_cmp_ne_u64_e32 vcc, 0, v[16:17]
                                        ; implicit-def: $vgpr16_vgpr17
	s_and_saveexec_b64 s[4:5], vcc
	s_xor_b64 s[24:25], exec, s[4:5]
	s_cbranch_execz .LBB39_53
; %bb.52:
	v_cvt_f32_u32_e32 v16, s50
	v_cvt_f32_u32_e32 v17, s51
	s_sub_u32 s4, 0, s50
	s_subb_u32 s5, 0, s51
	v_madmk_f32 v16, v17, 0x4f800000, v16
	v_rcp_f32_e32 v16, v16
	v_mul_f32_e32 v16, 0x5f7ffffc, v16
	v_mul_f32_e32 v17, 0x2f800000, v16
	v_trunc_f32_e32 v17, v17
	v_madmk_f32 v16, v17, 0xcf800000, v16
	v_cvt_u32_f32_e32 v17, v17
	v_cvt_u32_f32_e32 v16, v16
	v_mul_lo_u32 v20, s4, v17
	v_mul_hi_u32 v22, s4, v16
	v_mul_lo_u32 v21, s5, v16
	v_add_u32_e32 v20, v22, v20
	v_mul_lo_u32 v23, s4, v16
	v_add_u32_e32 v20, v20, v21
	v_mul_hi_u32 v22, v16, v23
	v_mul_lo_u32 v24, v16, v20
	v_mul_hi_u32 v21, v16, v20
	v_add_co_u32_e32 v22, vcc, v22, v24
	v_addc_co_u32_e32 v21, vcc, 0, v21, vcc
	v_mul_hi_u32 v25, v17, v23
	v_mul_lo_u32 v23, v17, v23
	v_add_co_u32_e32 v22, vcc, v22, v23
	v_mul_hi_u32 v24, v17, v20
	v_addc_co_u32_e32 v21, vcc, v21, v25, vcc
	v_addc_co_u32_e32 v22, vcc, 0, v24, vcc
	v_mul_lo_u32 v20, v17, v20
	v_add_co_u32_e32 v20, vcc, v21, v20
	v_addc_co_u32_e32 v21, vcc, 0, v22, vcc
	v_add_co_u32_e32 v16, vcc, v16, v20
	v_addc_co_u32_e32 v17, vcc, v17, v21, vcc
	v_mul_lo_u32 v20, s4, v17
	v_mul_hi_u32 v21, s4, v16
	v_add_u32_e32 v20, v21, v20
	v_mul_lo_u32 v21, s5, v16
	v_add_u32_e32 v20, v20, v21
	v_mul_lo_u32 v22, s4, v16
	v_mul_hi_u32 v23, v17, v22
	v_mul_lo_u32 v24, v17, v22
	v_mul_lo_u32 v26, v16, v20
	v_mul_hi_u32 v22, v16, v22
	v_mul_hi_u32 v25, v16, v20
	v_add_co_u32_e32 v22, vcc, v22, v26
	v_addc_co_u32_e32 v25, vcc, 0, v25, vcc
	v_add_co_u32_e32 v22, vcc, v22, v24
	v_mul_hi_u32 v21, v17, v20
	v_addc_co_u32_e32 v22, vcc, v25, v23, vcc
	v_addc_co_u32_e32 v21, vcc, 0, v21, vcc
	v_mul_lo_u32 v20, v17, v20
	v_add_co_u32_e32 v20, vcc, v22, v20
	v_addc_co_u32_e32 v21, vcc, 0, v21, vcc
	v_add_co_u32_e32 v20, vcc, v16, v20
	v_addc_co_u32_e32 v21, vcc, v17, v21, vcc
	v_mad_u64_u32 v[16:17], s[4:5], v18, v21, 0
	v_mul_hi_u32 v22, v18, v20
	v_add_co_u32_e32 v22, vcc, v22, v16
	v_addc_co_u32_e32 v23, vcc, 0, v17, vcc
	v_mad_u64_u32 v[16:17], s[4:5], v19, v21, 0
	v_mad_u64_u32 v[20:21], s[4:5], v19, v20, 0
	v_add_co_u32_e32 v20, vcc, v22, v20
	v_addc_co_u32_e32 v20, vcc, v23, v21, vcc
	v_addc_co_u32_e32 v17, vcc, 0, v17, vcc
	v_add_co_u32_e32 v20, vcc, v20, v16
	v_addc_co_u32_e32 v21, vcc, 0, v17, vcc
	v_mul_lo_u32 v22, s51, v20
	v_mul_lo_u32 v23, s50, v21
	v_mad_u64_u32 v[16:17], s[4:5], s50, v20, 0
	v_add3_u32 v17, v17, v23, v22
	v_sub_u32_e32 v22, v19, v17
	v_mov_b32_e32 v23, s51
	v_sub_co_u32_e32 v16, vcc, v18, v16
	v_subb_co_u32_e64 v18, s[4:5], v22, v23, vcc
	v_subrev_co_u32_e64 v22, s[4:5], s50, v16
	v_subbrev_co_u32_e64 v18, s[4:5], 0, v18, s[4:5]
	v_cmp_le_u32_e64 s[4:5], s51, v18
	v_cndmask_b32_e64 v23, 0, -1, s[4:5]
	v_cmp_le_u32_e64 s[4:5], s50, v22
	v_cndmask_b32_e64 v22, 0, -1, s[4:5]
	v_cmp_eq_u32_e64 s[4:5], s51, v18
	v_cndmask_b32_e64 v18, v23, v22, s[4:5]
	v_add_co_u32_e64 v22, s[4:5], 2, v20
	v_subb_co_u32_e32 v17, vcc, v19, v17, vcc
	v_addc_co_u32_e64 v23, s[4:5], 0, v21, s[4:5]
	v_cmp_le_u32_e32 vcc, s51, v17
	v_add_co_u32_e64 v24, s[4:5], 1, v20
	v_cndmask_b32_e64 v19, 0, -1, vcc
	v_cmp_le_u32_e32 vcc, s50, v16
	v_addc_co_u32_e64 v25, s[4:5], 0, v21, s[4:5]
	v_cndmask_b32_e64 v16, 0, -1, vcc
	v_cmp_eq_u32_e32 vcc, s51, v17
	v_cmp_ne_u32_e64 s[4:5], 0, v18
	v_cndmask_b32_e32 v16, v19, v16, vcc
	v_cndmask_b32_e64 v18, v25, v23, s[4:5]
	v_cmp_ne_u32_e32 vcc, 0, v16
	v_cndmask_b32_e64 v16, v24, v22, s[4:5]
	v_cndmask_b32_e32 v17, v21, v18, vcc
	v_cndmask_b32_e32 v16, v20, v16, vcc
                                        ; implicit-def: $vgpr18
.LBB39_53:
	s_andn2_saveexec_b64 s[4:5], s[24:25]
	s_cbranch_execz .LBB39_55
; %bb.54:
	v_cvt_f32_u32_e32 v16, s50
	s_sub_i32 s24, 0, s50
	v_rcp_iflag_f32_e32 v16, v16
	v_mul_f32_e32 v16, 0x4f7ffffe, v16
	v_cvt_u32_f32_e32 v16, v16
	v_mul_lo_u32 v17, s24, v16
	v_mul_hi_u32 v17, v16, v17
	v_add_u32_e32 v16, v16, v17
	v_mul_hi_u32 v16, v18, v16
	v_mul_lo_u32 v17, v16, s50
	v_sub_u32_e32 v17, v18, v17
	v_add_u32_e32 v19, 1, v16
	v_subrev_u32_e32 v18, s50, v17
	v_cmp_le_u32_e32 vcc, s50, v17
	v_cndmask_b32_e32 v17, v17, v18, vcc
	v_cndmask_b32_e32 v16, v16, v19, vcc
	v_add_u32_e32 v18, 1, v16
	v_cmp_le_u32_e32 vcc, s50, v17
	v_cndmask_b32_e32 v16, v16, v18, vcc
	v_mov_b32_e32 v17, 0
.LBB39_55:
	s_or_b64 exec, exec, s[4:5]
.LBB39_56:
	s_or_b64 exec, exec, s[22:23]
	v_or_b32_e32 v59, 0x800, v0
	v_cmp_gt_u32_e64 s[22:23], s68, v59
	v_pk_mov_b32 v[18:19], v[54:55], v[54:55] op_sel:[0,1]
	s_and_saveexec_b64 s[24:25], s[22:23]
	s_cbranch_execz .LBB39_62
; %bb.57:
	v_mov_b32_e32 v19, s53
	v_add_co_u32_e32 v20, vcc, s52, v59
	v_addc_co_u32_e32 v21, vcc, 0, v19, vcc
	v_mov_b32_e32 v18, 0
	v_or_b32_e32 v19, s51, v21
	v_cmp_ne_u64_e32 vcc, 0, v[18:19]
                                        ; implicit-def: $vgpr18_vgpr19
	s_and_saveexec_b64 s[4:5], vcc
	s_xor_b64 s[26:27], exec, s[4:5]
	s_cbranch_execz .LBB39_59
; %bb.58:
	v_cvt_f32_u32_e32 v18, s50
	v_cvt_f32_u32_e32 v19, s51
	s_sub_u32 s4, 0, s50
	s_subb_u32 s5, 0, s51
	v_madmk_f32 v18, v19, 0x4f800000, v18
	v_rcp_f32_e32 v18, v18
	v_mul_f32_e32 v18, 0x5f7ffffc, v18
	v_mul_f32_e32 v19, 0x2f800000, v18
	v_trunc_f32_e32 v19, v19
	v_madmk_f32 v18, v19, 0xcf800000, v18
	v_cvt_u32_f32_e32 v19, v19
	v_cvt_u32_f32_e32 v18, v18
	v_mul_lo_u32 v22, s4, v19
	v_mul_hi_u32 v24, s4, v18
	v_mul_lo_u32 v23, s5, v18
	v_add_u32_e32 v22, v24, v22
	v_mul_lo_u32 v25, s4, v18
	v_add_u32_e32 v22, v22, v23
	v_mul_hi_u32 v24, v18, v25
	v_mul_lo_u32 v26, v18, v22
	v_mul_hi_u32 v23, v18, v22
	v_add_co_u32_e32 v24, vcc, v24, v26
	v_addc_co_u32_e32 v23, vcc, 0, v23, vcc
	v_mul_hi_u32 v27, v19, v25
	v_mul_lo_u32 v25, v19, v25
	v_add_co_u32_e32 v24, vcc, v24, v25
	v_mul_hi_u32 v26, v19, v22
	v_addc_co_u32_e32 v23, vcc, v23, v27, vcc
	v_addc_co_u32_e32 v24, vcc, 0, v26, vcc
	v_mul_lo_u32 v22, v19, v22
	v_add_co_u32_e32 v22, vcc, v23, v22
	v_addc_co_u32_e32 v23, vcc, 0, v24, vcc
	v_add_co_u32_e32 v18, vcc, v18, v22
	v_addc_co_u32_e32 v19, vcc, v19, v23, vcc
	v_mul_lo_u32 v22, s4, v19
	v_mul_hi_u32 v23, s4, v18
	v_add_u32_e32 v22, v23, v22
	v_mul_lo_u32 v23, s5, v18
	v_add_u32_e32 v22, v22, v23
	v_mul_lo_u32 v24, s4, v18
	v_mul_hi_u32 v25, v19, v24
	v_mul_lo_u32 v26, v19, v24
	v_mul_lo_u32 v28, v18, v22
	v_mul_hi_u32 v24, v18, v24
	v_mul_hi_u32 v27, v18, v22
	v_add_co_u32_e32 v24, vcc, v24, v28
	v_addc_co_u32_e32 v27, vcc, 0, v27, vcc
	v_add_co_u32_e32 v24, vcc, v24, v26
	v_mul_hi_u32 v23, v19, v22
	v_addc_co_u32_e32 v24, vcc, v27, v25, vcc
	v_addc_co_u32_e32 v23, vcc, 0, v23, vcc
	v_mul_lo_u32 v22, v19, v22
	v_add_co_u32_e32 v22, vcc, v24, v22
	v_addc_co_u32_e32 v23, vcc, 0, v23, vcc
	v_add_co_u32_e32 v22, vcc, v18, v22
	v_addc_co_u32_e32 v23, vcc, v19, v23, vcc
	v_mad_u64_u32 v[18:19], s[4:5], v20, v23, 0
	v_mul_hi_u32 v24, v20, v22
	v_add_co_u32_e32 v24, vcc, v24, v18
	v_addc_co_u32_e32 v25, vcc, 0, v19, vcc
	v_mad_u64_u32 v[18:19], s[4:5], v21, v23, 0
	v_mad_u64_u32 v[22:23], s[4:5], v21, v22, 0
	v_add_co_u32_e32 v22, vcc, v24, v22
	v_addc_co_u32_e32 v22, vcc, v25, v23, vcc
	v_addc_co_u32_e32 v19, vcc, 0, v19, vcc
	v_add_co_u32_e32 v22, vcc, v22, v18
	v_addc_co_u32_e32 v23, vcc, 0, v19, vcc
	v_mul_lo_u32 v24, s51, v22
	v_mul_lo_u32 v25, s50, v23
	v_mad_u64_u32 v[18:19], s[4:5], s50, v22, 0
	v_add3_u32 v19, v19, v25, v24
	v_sub_u32_e32 v24, v21, v19
	v_mov_b32_e32 v25, s51
	v_sub_co_u32_e32 v18, vcc, v20, v18
	v_subb_co_u32_e64 v20, s[4:5], v24, v25, vcc
	v_subrev_co_u32_e64 v24, s[4:5], s50, v18
	v_subbrev_co_u32_e64 v20, s[4:5], 0, v20, s[4:5]
	v_cmp_le_u32_e64 s[4:5], s51, v20
	v_cndmask_b32_e64 v25, 0, -1, s[4:5]
	v_cmp_le_u32_e64 s[4:5], s50, v24
	v_cndmask_b32_e64 v24, 0, -1, s[4:5]
	v_cmp_eq_u32_e64 s[4:5], s51, v20
	v_cndmask_b32_e64 v20, v25, v24, s[4:5]
	v_add_co_u32_e64 v24, s[4:5], 2, v22
	v_subb_co_u32_e32 v19, vcc, v21, v19, vcc
	v_addc_co_u32_e64 v25, s[4:5], 0, v23, s[4:5]
	v_cmp_le_u32_e32 vcc, s51, v19
	v_add_co_u32_e64 v26, s[4:5], 1, v22
	v_cndmask_b32_e64 v21, 0, -1, vcc
	v_cmp_le_u32_e32 vcc, s50, v18
	v_addc_co_u32_e64 v27, s[4:5], 0, v23, s[4:5]
	v_cndmask_b32_e64 v18, 0, -1, vcc
	v_cmp_eq_u32_e32 vcc, s51, v19
	v_cmp_ne_u32_e64 s[4:5], 0, v20
	v_cndmask_b32_e32 v18, v21, v18, vcc
	v_cndmask_b32_e64 v20, v27, v25, s[4:5]
	v_cmp_ne_u32_e32 vcc, 0, v18
	v_cndmask_b32_e64 v18, v26, v24, s[4:5]
	v_cndmask_b32_e32 v19, v23, v20, vcc
	v_cndmask_b32_e32 v18, v22, v18, vcc
                                        ; implicit-def: $vgpr20
.LBB39_59:
	s_andn2_saveexec_b64 s[4:5], s[26:27]
	s_cbranch_execz .LBB39_61
; %bb.60:
	v_cvt_f32_u32_e32 v18, s50
	s_sub_i32 s26, 0, s50
	v_rcp_iflag_f32_e32 v18, v18
	v_mul_f32_e32 v18, 0x4f7ffffe, v18
	v_cvt_u32_f32_e32 v18, v18
	v_mul_lo_u32 v19, s26, v18
	v_mul_hi_u32 v19, v18, v19
	v_add_u32_e32 v18, v18, v19
	v_mul_hi_u32 v18, v20, v18
	v_mul_lo_u32 v19, v18, s50
	v_sub_u32_e32 v19, v20, v19
	v_add_u32_e32 v21, 1, v18
	v_subrev_u32_e32 v20, s50, v19
	v_cmp_le_u32_e32 vcc, s50, v19
	v_cndmask_b32_e32 v19, v19, v20, vcc
	v_cndmask_b32_e32 v18, v18, v21, vcc
	v_add_u32_e32 v20, 1, v18
	v_cmp_le_u32_e32 vcc, s50, v19
	v_cndmask_b32_e32 v18, v18, v20, vcc
	v_mov_b32_e32 v19, 0
.LBB39_61:
	s_or_b64 exec, exec, s[4:5]
.LBB39_62:
	s_or_b64 exec, exec, s[24:25]
	v_or_b32_e32 v60, 0x900, v0
	v_cmp_gt_u32_e64 s[24:25], s68, v60
	v_pk_mov_b32 v[20:21], v[54:55], v[54:55] op_sel:[0,1]
	s_and_saveexec_b64 s[26:27], s[24:25]
	s_cbranch_execz .LBB39_68
; %bb.63:
	v_mov_b32_e32 v21, s53
	v_add_co_u32_e32 v22, vcc, s52, v60
	v_addc_co_u32_e32 v23, vcc, 0, v21, vcc
	v_mov_b32_e32 v20, 0
	v_or_b32_e32 v21, s51, v23
	v_cmp_ne_u64_e32 vcc, 0, v[20:21]
                                        ; implicit-def: $vgpr20_vgpr21
	s_and_saveexec_b64 s[4:5], vcc
	s_xor_b64 s[28:29], exec, s[4:5]
	s_cbranch_execz .LBB39_65
; %bb.64:
	v_cvt_f32_u32_e32 v20, s50
	v_cvt_f32_u32_e32 v21, s51
	s_sub_u32 s4, 0, s50
	s_subb_u32 s5, 0, s51
	v_madmk_f32 v20, v21, 0x4f800000, v20
	v_rcp_f32_e32 v20, v20
	v_mul_f32_e32 v20, 0x5f7ffffc, v20
	v_mul_f32_e32 v21, 0x2f800000, v20
	v_trunc_f32_e32 v21, v21
	v_madmk_f32 v20, v21, 0xcf800000, v20
	v_cvt_u32_f32_e32 v21, v21
	v_cvt_u32_f32_e32 v20, v20
	v_mul_lo_u32 v24, s4, v21
	v_mul_hi_u32 v26, s4, v20
	v_mul_lo_u32 v25, s5, v20
	v_add_u32_e32 v24, v26, v24
	v_mul_lo_u32 v27, s4, v20
	v_add_u32_e32 v24, v24, v25
	v_mul_hi_u32 v26, v20, v27
	v_mul_lo_u32 v28, v20, v24
	v_mul_hi_u32 v25, v20, v24
	v_add_co_u32_e32 v26, vcc, v26, v28
	v_addc_co_u32_e32 v25, vcc, 0, v25, vcc
	v_mul_hi_u32 v29, v21, v27
	v_mul_lo_u32 v27, v21, v27
	v_add_co_u32_e32 v26, vcc, v26, v27
	v_mul_hi_u32 v28, v21, v24
	v_addc_co_u32_e32 v25, vcc, v25, v29, vcc
	v_addc_co_u32_e32 v26, vcc, 0, v28, vcc
	v_mul_lo_u32 v24, v21, v24
	v_add_co_u32_e32 v24, vcc, v25, v24
	v_addc_co_u32_e32 v25, vcc, 0, v26, vcc
	v_add_co_u32_e32 v20, vcc, v20, v24
	v_addc_co_u32_e32 v21, vcc, v21, v25, vcc
	v_mul_lo_u32 v24, s4, v21
	v_mul_hi_u32 v25, s4, v20
	v_add_u32_e32 v24, v25, v24
	v_mul_lo_u32 v25, s5, v20
	v_add_u32_e32 v24, v24, v25
	v_mul_lo_u32 v26, s4, v20
	v_mul_hi_u32 v27, v21, v26
	v_mul_lo_u32 v28, v21, v26
	v_mul_lo_u32 v30, v20, v24
	v_mul_hi_u32 v26, v20, v26
	v_mul_hi_u32 v29, v20, v24
	v_add_co_u32_e32 v26, vcc, v26, v30
	v_addc_co_u32_e32 v29, vcc, 0, v29, vcc
	v_add_co_u32_e32 v26, vcc, v26, v28
	v_mul_hi_u32 v25, v21, v24
	v_addc_co_u32_e32 v26, vcc, v29, v27, vcc
	v_addc_co_u32_e32 v25, vcc, 0, v25, vcc
	v_mul_lo_u32 v24, v21, v24
	v_add_co_u32_e32 v24, vcc, v26, v24
	v_addc_co_u32_e32 v25, vcc, 0, v25, vcc
	v_add_co_u32_e32 v24, vcc, v20, v24
	v_addc_co_u32_e32 v25, vcc, v21, v25, vcc
	v_mad_u64_u32 v[20:21], s[4:5], v22, v25, 0
	v_mul_hi_u32 v26, v22, v24
	v_add_co_u32_e32 v26, vcc, v26, v20
	v_addc_co_u32_e32 v27, vcc, 0, v21, vcc
	v_mad_u64_u32 v[20:21], s[4:5], v23, v25, 0
	v_mad_u64_u32 v[24:25], s[4:5], v23, v24, 0
	v_add_co_u32_e32 v24, vcc, v26, v24
	v_addc_co_u32_e32 v24, vcc, v27, v25, vcc
	v_addc_co_u32_e32 v21, vcc, 0, v21, vcc
	v_add_co_u32_e32 v24, vcc, v24, v20
	v_addc_co_u32_e32 v25, vcc, 0, v21, vcc
	v_mul_lo_u32 v26, s51, v24
	v_mul_lo_u32 v27, s50, v25
	v_mad_u64_u32 v[20:21], s[4:5], s50, v24, 0
	v_add3_u32 v21, v21, v27, v26
	v_sub_u32_e32 v26, v23, v21
	v_mov_b32_e32 v27, s51
	v_sub_co_u32_e32 v20, vcc, v22, v20
	v_subb_co_u32_e64 v22, s[4:5], v26, v27, vcc
	v_subrev_co_u32_e64 v26, s[4:5], s50, v20
	v_subbrev_co_u32_e64 v22, s[4:5], 0, v22, s[4:5]
	v_cmp_le_u32_e64 s[4:5], s51, v22
	v_cndmask_b32_e64 v27, 0, -1, s[4:5]
	v_cmp_le_u32_e64 s[4:5], s50, v26
	v_cndmask_b32_e64 v26, 0, -1, s[4:5]
	v_cmp_eq_u32_e64 s[4:5], s51, v22
	v_cndmask_b32_e64 v22, v27, v26, s[4:5]
	v_add_co_u32_e64 v26, s[4:5], 2, v24
	v_subb_co_u32_e32 v21, vcc, v23, v21, vcc
	v_addc_co_u32_e64 v27, s[4:5], 0, v25, s[4:5]
	v_cmp_le_u32_e32 vcc, s51, v21
	v_add_co_u32_e64 v28, s[4:5], 1, v24
	v_cndmask_b32_e64 v23, 0, -1, vcc
	v_cmp_le_u32_e32 vcc, s50, v20
	v_addc_co_u32_e64 v29, s[4:5], 0, v25, s[4:5]
	v_cndmask_b32_e64 v20, 0, -1, vcc
	v_cmp_eq_u32_e32 vcc, s51, v21
	v_cmp_ne_u32_e64 s[4:5], 0, v22
	v_cndmask_b32_e32 v20, v23, v20, vcc
	v_cndmask_b32_e64 v22, v29, v27, s[4:5]
	v_cmp_ne_u32_e32 vcc, 0, v20
	v_cndmask_b32_e64 v20, v28, v26, s[4:5]
	v_cndmask_b32_e32 v21, v25, v22, vcc
	v_cndmask_b32_e32 v20, v24, v20, vcc
                                        ; implicit-def: $vgpr22
.LBB39_65:
	s_andn2_saveexec_b64 s[4:5], s[28:29]
	s_cbranch_execz .LBB39_67
; %bb.66:
	v_cvt_f32_u32_e32 v20, s50
	s_sub_i32 s28, 0, s50
	v_rcp_iflag_f32_e32 v20, v20
	v_mul_f32_e32 v20, 0x4f7ffffe, v20
	v_cvt_u32_f32_e32 v20, v20
	v_mul_lo_u32 v21, s28, v20
	v_mul_hi_u32 v21, v20, v21
	v_add_u32_e32 v20, v20, v21
	v_mul_hi_u32 v20, v22, v20
	v_mul_lo_u32 v21, v20, s50
	v_sub_u32_e32 v21, v22, v21
	v_add_u32_e32 v23, 1, v20
	v_subrev_u32_e32 v22, s50, v21
	v_cmp_le_u32_e32 vcc, s50, v21
	v_cndmask_b32_e32 v21, v21, v22, vcc
	v_cndmask_b32_e32 v20, v20, v23, vcc
	v_add_u32_e32 v22, 1, v20
	v_cmp_le_u32_e32 vcc, s50, v21
	v_cndmask_b32_e32 v20, v20, v22, vcc
	v_mov_b32_e32 v21, 0
.LBB39_67:
	s_or_b64 exec, exec, s[4:5]
.LBB39_68:
	s_or_b64 exec, exec, s[26:27]
	v_or_b32_e32 v61, 0xa00, v0
	v_cmp_gt_u32_e64 s[26:27], s68, v61
	v_pk_mov_b32 v[22:23], v[54:55], v[54:55] op_sel:[0,1]
	s_and_saveexec_b64 s[28:29], s[26:27]
	s_cbranch_execz .LBB39_74
; %bb.69:
	v_mov_b32_e32 v23, s53
	v_add_co_u32_e32 v24, vcc, s52, v61
	v_addc_co_u32_e32 v25, vcc, 0, v23, vcc
	v_mov_b32_e32 v22, 0
	v_or_b32_e32 v23, s51, v25
	v_cmp_ne_u64_e32 vcc, 0, v[22:23]
                                        ; implicit-def: $vgpr22_vgpr23
	s_and_saveexec_b64 s[4:5], vcc
	s_xor_b64 s[30:31], exec, s[4:5]
	s_cbranch_execz .LBB39_71
; %bb.70:
	v_cvt_f32_u32_e32 v22, s50
	v_cvt_f32_u32_e32 v23, s51
	s_sub_u32 s4, 0, s50
	s_subb_u32 s5, 0, s51
	v_madmk_f32 v22, v23, 0x4f800000, v22
	v_rcp_f32_e32 v22, v22
	v_mul_f32_e32 v22, 0x5f7ffffc, v22
	v_mul_f32_e32 v23, 0x2f800000, v22
	v_trunc_f32_e32 v23, v23
	v_madmk_f32 v22, v23, 0xcf800000, v22
	v_cvt_u32_f32_e32 v23, v23
	v_cvt_u32_f32_e32 v22, v22
	v_mul_lo_u32 v26, s4, v23
	v_mul_hi_u32 v28, s4, v22
	v_mul_lo_u32 v27, s5, v22
	v_add_u32_e32 v26, v28, v26
	v_mul_lo_u32 v29, s4, v22
	v_add_u32_e32 v26, v26, v27
	v_mul_hi_u32 v28, v22, v29
	v_mul_lo_u32 v30, v22, v26
	v_mul_hi_u32 v27, v22, v26
	v_add_co_u32_e32 v28, vcc, v28, v30
	v_addc_co_u32_e32 v27, vcc, 0, v27, vcc
	v_mul_hi_u32 v31, v23, v29
	v_mul_lo_u32 v29, v23, v29
	v_add_co_u32_e32 v28, vcc, v28, v29
	v_mul_hi_u32 v30, v23, v26
	v_addc_co_u32_e32 v27, vcc, v27, v31, vcc
	v_addc_co_u32_e32 v28, vcc, 0, v30, vcc
	v_mul_lo_u32 v26, v23, v26
	v_add_co_u32_e32 v26, vcc, v27, v26
	v_addc_co_u32_e32 v27, vcc, 0, v28, vcc
	v_add_co_u32_e32 v22, vcc, v22, v26
	v_addc_co_u32_e32 v23, vcc, v23, v27, vcc
	v_mul_lo_u32 v26, s4, v23
	v_mul_hi_u32 v27, s4, v22
	v_add_u32_e32 v26, v27, v26
	v_mul_lo_u32 v27, s5, v22
	v_add_u32_e32 v26, v26, v27
	v_mul_lo_u32 v28, s4, v22
	v_mul_hi_u32 v29, v23, v28
	v_mul_lo_u32 v30, v23, v28
	v_mul_lo_u32 v32, v22, v26
	v_mul_hi_u32 v28, v22, v28
	v_mul_hi_u32 v31, v22, v26
	v_add_co_u32_e32 v28, vcc, v28, v32
	v_addc_co_u32_e32 v31, vcc, 0, v31, vcc
	v_add_co_u32_e32 v28, vcc, v28, v30
	v_mul_hi_u32 v27, v23, v26
	v_addc_co_u32_e32 v28, vcc, v31, v29, vcc
	v_addc_co_u32_e32 v27, vcc, 0, v27, vcc
	v_mul_lo_u32 v26, v23, v26
	v_add_co_u32_e32 v26, vcc, v28, v26
	v_addc_co_u32_e32 v27, vcc, 0, v27, vcc
	v_add_co_u32_e32 v26, vcc, v22, v26
	v_addc_co_u32_e32 v27, vcc, v23, v27, vcc
	v_mad_u64_u32 v[22:23], s[4:5], v24, v27, 0
	v_mul_hi_u32 v28, v24, v26
	v_add_co_u32_e32 v28, vcc, v28, v22
	v_addc_co_u32_e32 v29, vcc, 0, v23, vcc
	v_mad_u64_u32 v[22:23], s[4:5], v25, v27, 0
	v_mad_u64_u32 v[26:27], s[4:5], v25, v26, 0
	v_add_co_u32_e32 v26, vcc, v28, v26
	v_addc_co_u32_e32 v26, vcc, v29, v27, vcc
	v_addc_co_u32_e32 v23, vcc, 0, v23, vcc
	v_add_co_u32_e32 v26, vcc, v26, v22
	v_addc_co_u32_e32 v27, vcc, 0, v23, vcc
	v_mul_lo_u32 v28, s51, v26
	v_mul_lo_u32 v29, s50, v27
	v_mad_u64_u32 v[22:23], s[4:5], s50, v26, 0
	v_add3_u32 v23, v23, v29, v28
	v_sub_u32_e32 v28, v25, v23
	v_mov_b32_e32 v29, s51
	v_sub_co_u32_e32 v22, vcc, v24, v22
	v_subb_co_u32_e64 v24, s[4:5], v28, v29, vcc
	v_subrev_co_u32_e64 v28, s[4:5], s50, v22
	v_subbrev_co_u32_e64 v24, s[4:5], 0, v24, s[4:5]
	v_cmp_le_u32_e64 s[4:5], s51, v24
	v_cndmask_b32_e64 v29, 0, -1, s[4:5]
	v_cmp_le_u32_e64 s[4:5], s50, v28
	v_cndmask_b32_e64 v28, 0, -1, s[4:5]
	v_cmp_eq_u32_e64 s[4:5], s51, v24
	v_cndmask_b32_e64 v24, v29, v28, s[4:5]
	v_add_co_u32_e64 v28, s[4:5], 2, v26
	v_subb_co_u32_e32 v23, vcc, v25, v23, vcc
	v_addc_co_u32_e64 v29, s[4:5], 0, v27, s[4:5]
	v_cmp_le_u32_e32 vcc, s51, v23
	v_add_co_u32_e64 v30, s[4:5], 1, v26
	v_cndmask_b32_e64 v25, 0, -1, vcc
	v_cmp_le_u32_e32 vcc, s50, v22
	v_addc_co_u32_e64 v31, s[4:5], 0, v27, s[4:5]
	v_cndmask_b32_e64 v22, 0, -1, vcc
	v_cmp_eq_u32_e32 vcc, s51, v23
	v_cmp_ne_u32_e64 s[4:5], 0, v24
	v_cndmask_b32_e32 v22, v25, v22, vcc
	v_cndmask_b32_e64 v24, v31, v29, s[4:5]
	v_cmp_ne_u32_e32 vcc, 0, v22
	v_cndmask_b32_e64 v22, v30, v28, s[4:5]
	v_cndmask_b32_e32 v23, v27, v24, vcc
	v_cndmask_b32_e32 v22, v26, v22, vcc
                                        ; implicit-def: $vgpr24
.LBB39_71:
	s_andn2_saveexec_b64 s[4:5], s[30:31]
	s_cbranch_execz .LBB39_73
; %bb.72:
	v_cvt_f32_u32_e32 v22, s50
	s_sub_i32 s30, 0, s50
	v_rcp_iflag_f32_e32 v22, v22
	v_mul_f32_e32 v22, 0x4f7ffffe, v22
	v_cvt_u32_f32_e32 v22, v22
	v_mul_lo_u32 v23, s30, v22
	v_mul_hi_u32 v23, v22, v23
	v_add_u32_e32 v22, v22, v23
	v_mul_hi_u32 v22, v24, v22
	v_mul_lo_u32 v23, v22, s50
	v_sub_u32_e32 v23, v24, v23
	v_add_u32_e32 v25, 1, v22
	v_subrev_u32_e32 v24, s50, v23
	v_cmp_le_u32_e32 vcc, s50, v23
	v_cndmask_b32_e32 v23, v23, v24, vcc
	v_cndmask_b32_e32 v22, v22, v25, vcc
	v_add_u32_e32 v24, 1, v22
	v_cmp_le_u32_e32 vcc, s50, v23
	v_cndmask_b32_e32 v22, v22, v24, vcc
	v_mov_b32_e32 v23, 0
.LBB39_73:
	s_or_b64 exec, exec, s[4:5]
.LBB39_74:
	s_or_b64 exec, exec, s[28:29]
	v_or_b32_e32 v62, 0xb00, v0
	v_cmp_gt_u32_e64 s[28:29], s68, v62
	v_pk_mov_b32 v[24:25], v[54:55], v[54:55] op_sel:[0,1]
	s_and_saveexec_b64 s[30:31], s[28:29]
	s_cbranch_execz .LBB39_80
; %bb.75:
	v_mov_b32_e32 v25, s53
	v_add_co_u32_e32 v26, vcc, s52, v62
	v_addc_co_u32_e32 v27, vcc, 0, v25, vcc
	v_mov_b32_e32 v24, 0
	v_or_b32_e32 v25, s51, v27
	v_cmp_ne_u64_e32 vcc, 0, v[24:25]
                                        ; implicit-def: $vgpr24_vgpr25
	s_and_saveexec_b64 s[4:5], vcc
	s_xor_b64 s[34:35], exec, s[4:5]
	s_cbranch_execz .LBB39_77
; %bb.76:
	v_cvt_f32_u32_e32 v24, s50
	v_cvt_f32_u32_e32 v25, s51
	s_sub_u32 s4, 0, s50
	s_subb_u32 s5, 0, s51
	v_madmk_f32 v24, v25, 0x4f800000, v24
	v_rcp_f32_e32 v24, v24
	v_mul_f32_e32 v24, 0x5f7ffffc, v24
	v_mul_f32_e32 v25, 0x2f800000, v24
	v_trunc_f32_e32 v25, v25
	v_madmk_f32 v24, v25, 0xcf800000, v24
	v_cvt_u32_f32_e32 v25, v25
	v_cvt_u32_f32_e32 v24, v24
	v_mul_lo_u32 v28, s4, v25
	v_mul_hi_u32 v30, s4, v24
	v_mul_lo_u32 v29, s5, v24
	v_add_u32_e32 v28, v30, v28
	v_mul_lo_u32 v31, s4, v24
	v_add_u32_e32 v28, v28, v29
	v_mul_hi_u32 v30, v24, v31
	v_mul_lo_u32 v32, v24, v28
	v_mul_hi_u32 v29, v24, v28
	v_add_co_u32_e32 v30, vcc, v30, v32
	v_addc_co_u32_e32 v29, vcc, 0, v29, vcc
	v_mul_hi_u32 v33, v25, v31
	v_mul_lo_u32 v31, v25, v31
	v_add_co_u32_e32 v30, vcc, v30, v31
	v_mul_hi_u32 v32, v25, v28
	v_addc_co_u32_e32 v29, vcc, v29, v33, vcc
	v_addc_co_u32_e32 v30, vcc, 0, v32, vcc
	v_mul_lo_u32 v28, v25, v28
	v_add_co_u32_e32 v28, vcc, v29, v28
	v_addc_co_u32_e32 v29, vcc, 0, v30, vcc
	v_add_co_u32_e32 v24, vcc, v24, v28
	v_addc_co_u32_e32 v25, vcc, v25, v29, vcc
	v_mul_lo_u32 v28, s4, v25
	v_mul_hi_u32 v29, s4, v24
	v_add_u32_e32 v28, v29, v28
	v_mul_lo_u32 v29, s5, v24
	v_add_u32_e32 v28, v28, v29
	v_mul_lo_u32 v30, s4, v24
	v_mul_hi_u32 v31, v25, v30
	v_mul_lo_u32 v32, v25, v30
	v_mul_lo_u32 v34, v24, v28
	v_mul_hi_u32 v30, v24, v30
	v_mul_hi_u32 v33, v24, v28
	v_add_co_u32_e32 v30, vcc, v30, v34
	v_addc_co_u32_e32 v33, vcc, 0, v33, vcc
	v_add_co_u32_e32 v30, vcc, v30, v32
	v_mul_hi_u32 v29, v25, v28
	v_addc_co_u32_e32 v30, vcc, v33, v31, vcc
	v_addc_co_u32_e32 v29, vcc, 0, v29, vcc
	v_mul_lo_u32 v28, v25, v28
	v_add_co_u32_e32 v28, vcc, v30, v28
	v_addc_co_u32_e32 v29, vcc, 0, v29, vcc
	v_add_co_u32_e32 v28, vcc, v24, v28
	v_addc_co_u32_e32 v29, vcc, v25, v29, vcc
	v_mad_u64_u32 v[24:25], s[4:5], v26, v29, 0
	v_mul_hi_u32 v30, v26, v28
	v_add_co_u32_e32 v30, vcc, v30, v24
	v_addc_co_u32_e32 v31, vcc, 0, v25, vcc
	v_mad_u64_u32 v[24:25], s[4:5], v27, v29, 0
	v_mad_u64_u32 v[28:29], s[4:5], v27, v28, 0
	v_add_co_u32_e32 v28, vcc, v30, v28
	v_addc_co_u32_e32 v28, vcc, v31, v29, vcc
	v_addc_co_u32_e32 v25, vcc, 0, v25, vcc
	v_add_co_u32_e32 v28, vcc, v28, v24
	v_addc_co_u32_e32 v29, vcc, 0, v25, vcc
	v_mul_lo_u32 v30, s51, v28
	v_mul_lo_u32 v31, s50, v29
	v_mad_u64_u32 v[24:25], s[4:5], s50, v28, 0
	v_add3_u32 v25, v25, v31, v30
	v_sub_u32_e32 v30, v27, v25
	v_mov_b32_e32 v31, s51
	v_sub_co_u32_e32 v24, vcc, v26, v24
	v_subb_co_u32_e64 v26, s[4:5], v30, v31, vcc
	v_subrev_co_u32_e64 v30, s[4:5], s50, v24
	v_subbrev_co_u32_e64 v26, s[4:5], 0, v26, s[4:5]
	v_cmp_le_u32_e64 s[4:5], s51, v26
	v_cndmask_b32_e64 v31, 0, -1, s[4:5]
	v_cmp_le_u32_e64 s[4:5], s50, v30
	v_cndmask_b32_e64 v30, 0, -1, s[4:5]
	v_cmp_eq_u32_e64 s[4:5], s51, v26
	v_cndmask_b32_e64 v26, v31, v30, s[4:5]
	v_add_co_u32_e64 v30, s[4:5], 2, v28
	v_subb_co_u32_e32 v25, vcc, v27, v25, vcc
	v_addc_co_u32_e64 v31, s[4:5], 0, v29, s[4:5]
	v_cmp_le_u32_e32 vcc, s51, v25
	v_add_co_u32_e64 v32, s[4:5], 1, v28
	v_cndmask_b32_e64 v27, 0, -1, vcc
	v_cmp_le_u32_e32 vcc, s50, v24
	v_addc_co_u32_e64 v33, s[4:5], 0, v29, s[4:5]
	v_cndmask_b32_e64 v24, 0, -1, vcc
	v_cmp_eq_u32_e32 vcc, s51, v25
	v_cmp_ne_u32_e64 s[4:5], 0, v26
	v_cndmask_b32_e32 v24, v27, v24, vcc
	v_cndmask_b32_e64 v26, v33, v31, s[4:5]
	v_cmp_ne_u32_e32 vcc, 0, v24
	v_cndmask_b32_e64 v24, v32, v30, s[4:5]
	v_cndmask_b32_e32 v25, v29, v26, vcc
	v_cndmask_b32_e32 v24, v28, v24, vcc
                                        ; implicit-def: $vgpr26
.LBB39_77:
	s_andn2_saveexec_b64 s[4:5], s[34:35]
	s_cbranch_execz .LBB39_79
; %bb.78:
	v_cvt_f32_u32_e32 v24, s50
	s_sub_i32 s34, 0, s50
	v_rcp_iflag_f32_e32 v24, v24
	v_mul_f32_e32 v24, 0x4f7ffffe, v24
	v_cvt_u32_f32_e32 v24, v24
	v_mul_lo_u32 v25, s34, v24
	v_mul_hi_u32 v25, v24, v25
	v_add_u32_e32 v24, v24, v25
	v_mul_hi_u32 v24, v26, v24
	v_mul_lo_u32 v25, v24, s50
	v_sub_u32_e32 v25, v26, v25
	v_add_u32_e32 v27, 1, v24
	v_subrev_u32_e32 v26, s50, v25
	v_cmp_le_u32_e32 vcc, s50, v25
	v_cndmask_b32_e32 v25, v25, v26, vcc
	v_cndmask_b32_e32 v24, v24, v27, vcc
	v_add_u32_e32 v26, 1, v24
	v_cmp_le_u32_e32 vcc, s50, v25
	v_cndmask_b32_e32 v24, v24, v26, vcc
	v_mov_b32_e32 v25, 0
.LBB39_79:
	s_or_b64 exec, exec, s[4:5]
.LBB39_80:
	s_or_b64 exec, exec, s[30:31]
	v_or_b32_e32 v63, 0xc00, v0
	v_cmp_gt_u32_e64 s[30:31], s68, v63
	v_pk_mov_b32 v[26:27], v[54:55], v[54:55] op_sel:[0,1]
	s_and_saveexec_b64 s[34:35], s[30:31]
	s_cbranch_execz .LBB39_86
; %bb.81:
	v_mov_b32_e32 v27, s53
	v_add_co_u32_e32 v28, vcc, s52, v63
	v_addc_co_u32_e32 v29, vcc, 0, v27, vcc
	v_mov_b32_e32 v26, 0
	v_or_b32_e32 v27, s51, v29
	v_cmp_ne_u64_e32 vcc, 0, v[26:27]
                                        ; implicit-def: $vgpr26_vgpr27
	s_and_saveexec_b64 s[4:5], vcc
	s_xor_b64 s[40:41], exec, s[4:5]
	s_cbranch_execz .LBB39_83
; %bb.82:
	v_cvt_f32_u32_e32 v26, s50
	v_cvt_f32_u32_e32 v27, s51
	s_sub_u32 s4, 0, s50
	s_subb_u32 s5, 0, s51
	v_madmk_f32 v26, v27, 0x4f800000, v26
	v_rcp_f32_e32 v26, v26
	v_mul_f32_e32 v26, 0x5f7ffffc, v26
	v_mul_f32_e32 v27, 0x2f800000, v26
	v_trunc_f32_e32 v27, v27
	v_madmk_f32 v26, v27, 0xcf800000, v26
	v_cvt_u32_f32_e32 v27, v27
	v_cvt_u32_f32_e32 v26, v26
	v_mul_lo_u32 v30, s4, v27
	v_mul_hi_u32 v32, s4, v26
	v_mul_lo_u32 v31, s5, v26
	v_add_u32_e32 v30, v32, v30
	v_mul_lo_u32 v33, s4, v26
	v_add_u32_e32 v30, v30, v31
	v_mul_hi_u32 v32, v26, v33
	v_mul_lo_u32 v34, v26, v30
	v_mul_hi_u32 v31, v26, v30
	v_add_co_u32_e32 v32, vcc, v32, v34
	v_addc_co_u32_e32 v31, vcc, 0, v31, vcc
	v_mul_hi_u32 v35, v27, v33
	v_mul_lo_u32 v33, v27, v33
	v_add_co_u32_e32 v32, vcc, v32, v33
	v_mul_hi_u32 v34, v27, v30
	v_addc_co_u32_e32 v31, vcc, v31, v35, vcc
	v_addc_co_u32_e32 v32, vcc, 0, v34, vcc
	v_mul_lo_u32 v30, v27, v30
	v_add_co_u32_e32 v30, vcc, v31, v30
	v_addc_co_u32_e32 v31, vcc, 0, v32, vcc
	v_add_co_u32_e32 v26, vcc, v26, v30
	v_addc_co_u32_e32 v27, vcc, v27, v31, vcc
	v_mul_lo_u32 v30, s4, v27
	v_mul_hi_u32 v31, s4, v26
	v_add_u32_e32 v30, v31, v30
	v_mul_lo_u32 v31, s5, v26
	v_add_u32_e32 v30, v30, v31
	v_mul_lo_u32 v32, s4, v26
	v_mul_hi_u32 v33, v27, v32
	v_mul_lo_u32 v34, v27, v32
	v_mul_lo_u32 v36, v26, v30
	v_mul_hi_u32 v32, v26, v32
	v_mul_hi_u32 v35, v26, v30
	v_add_co_u32_e32 v32, vcc, v32, v36
	v_addc_co_u32_e32 v35, vcc, 0, v35, vcc
	v_add_co_u32_e32 v32, vcc, v32, v34
	v_mul_hi_u32 v31, v27, v30
	v_addc_co_u32_e32 v32, vcc, v35, v33, vcc
	v_addc_co_u32_e32 v31, vcc, 0, v31, vcc
	v_mul_lo_u32 v30, v27, v30
	v_add_co_u32_e32 v30, vcc, v32, v30
	v_addc_co_u32_e32 v31, vcc, 0, v31, vcc
	v_add_co_u32_e32 v30, vcc, v26, v30
	v_addc_co_u32_e32 v31, vcc, v27, v31, vcc
	v_mad_u64_u32 v[26:27], s[4:5], v28, v31, 0
	v_mul_hi_u32 v32, v28, v30
	v_add_co_u32_e32 v32, vcc, v32, v26
	v_addc_co_u32_e32 v33, vcc, 0, v27, vcc
	v_mad_u64_u32 v[26:27], s[4:5], v29, v31, 0
	v_mad_u64_u32 v[30:31], s[4:5], v29, v30, 0
	v_add_co_u32_e32 v30, vcc, v32, v30
	v_addc_co_u32_e32 v30, vcc, v33, v31, vcc
	v_addc_co_u32_e32 v27, vcc, 0, v27, vcc
	v_add_co_u32_e32 v30, vcc, v30, v26
	v_addc_co_u32_e32 v31, vcc, 0, v27, vcc
	v_mul_lo_u32 v32, s51, v30
	v_mul_lo_u32 v33, s50, v31
	v_mad_u64_u32 v[26:27], s[4:5], s50, v30, 0
	v_add3_u32 v27, v27, v33, v32
	v_sub_u32_e32 v32, v29, v27
	v_mov_b32_e32 v33, s51
	v_sub_co_u32_e32 v26, vcc, v28, v26
	v_subb_co_u32_e64 v28, s[4:5], v32, v33, vcc
	v_subrev_co_u32_e64 v32, s[4:5], s50, v26
	v_subbrev_co_u32_e64 v28, s[4:5], 0, v28, s[4:5]
	v_cmp_le_u32_e64 s[4:5], s51, v28
	v_cndmask_b32_e64 v33, 0, -1, s[4:5]
	v_cmp_le_u32_e64 s[4:5], s50, v32
	v_cndmask_b32_e64 v32, 0, -1, s[4:5]
	v_cmp_eq_u32_e64 s[4:5], s51, v28
	v_cndmask_b32_e64 v28, v33, v32, s[4:5]
	v_add_co_u32_e64 v32, s[4:5], 2, v30
	v_subb_co_u32_e32 v27, vcc, v29, v27, vcc
	v_addc_co_u32_e64 v33, s[4:5], 0, v31, s[4:5]
	v_cmp_le_u32_e32 vcc, s51, v27
	v_add_co_u32_e64 v34, s[4:5], 1, v30
	v_cndmask_b32_e64 v29, 0, -1, vcc
	v_cmp_le_u32_e32 vcc, s50, v26
	v_addc_co_u32_e64 v35, s[4:5], 0, v31, s[4:5]
	v_cndmask_b32_e64 v26, 0, -1, vcc
	v_cmp_eq_u32_e32 vcc, s51, v27
	v_cmp_ne_u32_e64 s[4:5], 0, v28
	v_cndmask_b32_e32 v26, v29, v26, vcc
	v_cndmask_b32_e64 v28, v35, v33, s[4:5]
	v_cmp_ne_u32_e32 vcc, 0, v26
	v_cndmask_b32_e64 v26, v34, v32, s[4:5]
	v_cndmask_b32_e32 v27, v31, v28, vcc
	v_cndmask_b32_e32 v26, v30, v26, vcc
                                        ; implicit-def: $vgpr28
.LBB39_83:
	s_andn2_saveexec_b64 s[4:5], s[40:41]
	s_cbranch_execz .LBB39_85
; %bb.84:
	v_cvt_f32_u32_e32 v26, s50
	s_sub_i32 s40, 0, s50
	v_rcp_iflag_f32_e32 v26, v26
	v_mul_f32_e32 v26, 0x4f7ffffe, v26
	v_cvt_u32_f32_e32 v26, v26
	v_mul_lo_u32 v27, s40, v26
	v_mul_hi_u32 v27, v26, v27
	v_add_u32_e32 v26, v26, v27
	v_mul_hi_u32 v26, v28, v26
	v_mul_lo_u32 v27, v26, s50
	v_sub_u32_e32 v27, v28, v27
	v_add_u32_e32 v29, 1, v26
	v_subrev_u32_e32 v28, s50, v27
	v_cmp_le_u32_e32 vcc, s50, v27
	v_cndmask_b32_e32 v27, v27, v28, vcc
	v_cndmask_b32_e32 v26, v26, v29, vcc
	v_add_u32_e32 v28, 1, v26
	v_cmp_le_u32_e32 vcc, s50, v27
	v_cndmask_b32_e32 v26, v26, v28, vcc
	v_mov_b32_e32 v27, 0
.LBB39_85:
	s_or_b64 exec, exec, s[4:5]
.LBB39_86:
	s_or_b64 exec, exec, s[34:35]
	v_or_b32_e32 v64, 0xd00, v0
	v_cmp_gt_u32_e64 s[34:35], s68, v64
	v_pk_mov_b32 v[28:29], v[54:55], v[54:55] op_sel:[0,1]
	s_and_saveexec_b64 s[40:41], s[34:35]
	s_cbranch_execz .LBB39_92
; %bb.87:
	v_mov_b32_e32 v29, s53
	v_add_co_u32_e32 v30, vcc, s52, v64
	v_addc_co_u32_e32 v31, vcc, 0, v29, vcc
	v_mov_b32_e32 v28, 0
	v_or_b32_e32 v29, s51, v31
	v_cmp_ne_u64_e32 vcc, 0, v[28:29]
                                        ; implicit-def: $vgpr28_vgpr29
	s_and_saveexec_b64 s[4:5], vcc
	s_xor_b64 s[64:65], exec, s[4:5]
	s_cbranch_execz .LBB39_89
; %bb.88:
	v_cvt_f32_u32_e32 v28, s50
	v_cvt_f32_u32_e32 v29, s51
	s_sub_u32 s4, 0, s50
	s_subb_u32 s5, 0, s51
	v_madmk_f32 v28, v29, 0x4f800000, v28
	v_rcp_f32_e32 v28, v28
	v_mul_f32_e32 v28, 0x5f7ffffc, v28
	v_mul_f32_e32 v29, 0x2f800000, v28
	v_trunc_f32_e32 v29, v29
	v_madmk_f32 v28, v29, 0xcf800000, v28
	v_cvt_u32_f32_e32 v29, v29
	v_cvt_u32_f32_e32 v28, v28
	v_mul_lo_u32 v32, s4, v29
	v_mul_hi_u32 v34, s4, v28
	v_mul_lo_u32 v33, s5, v28
	v_add_u32_e32 v32, v34, v32
	v_mul_lo_u32 v35, s4, v28
	v_add_u32_e32 v32, v32, v33
	v_mul_hi_u32 v34, v28, v35
	v_mul_lo_u32 v36, v28, v32
	v_mul_hi_u32 v33, v28, v32
	v_add_co_u32_e32 v34, vcc, v34, v36
	v_addc_co_u32_e32 v33, vcc, 0, v33, vcc
	v_mul_hi_u32 v37, v29, v35
	v_mul_lo_u32 v35, v29, v35
	v_add_co_u32_e32 v34, vcc, v34, v35
	v_mul_hi_u32 v36, v29, v32
	v_addc_co_u32_e32 v33, vcc, v33, v37, vcc
	v_addc_co_u32_e32 v34, vcc, 0, v36, vcc
	v_mul_lo_u32 v32, v29, v32
	v_add_co_u32_e32 v32, vcc, v33, v32
	v_addc_co_u32_e32 v33, vcc, 0, v34, vcc
	v_add_co_u32_e32 v28, vcc, v28, v32
	v_addc_co_u32_e32 v29, vcc, v29, v33, vcc
	v_mul_lo_u32 v32, s4, v29
	v_mul_hi_u32 v33, s4, v28
	v_add_u32_e32 v32, v33, v32
	v_mul_lo_u32 v33, s5, v28
	v_add_u32_e32 v32, v32, v33
	v_mul_lo_u32 v34, s4, v28
	v_mul_hi_u32 v35, v29, v34
	v_mul_lo_u32 v36, v29, v34
	v_mul_lo_u32 v38, v28, v32
	v_mul_hi_u32 v34, v28, v34
	v_mul_hi_u32 v37, v28, v32
	v_add_co_u32_e32 v34, vcc, v34, v38
	v_addc_co_u32_e32 v37, vcc, 0, v37, vcc
	v_add_co_u32_e32 v34, vcc, v34, v36
	v_mul_hi_u32 v33, v29, v32
	v_addc_co_u32_e32 v34, vcc, v37, v35, vcc
	v_addc_co_u32_e32 v33, vcc, 0, v33, vcc
	v_mul_lo_u32 v32, v29, v32
	v_add_co_u32_e32 v32, vcc, v34, v32
	v_addc_co_u32_e32 v33, vcc, 0, v33, vcc
	v_add_co_u32_e32 v32, vcc, v28, v32
	v_addc_co_u32_e32 v33, vcc, v29, v33, vcc
	v_mad_u64_u32 v[28:29], s[4:5], v30, v33, 0
	v_mul_hi_u32 v34, v30, v32
	v_add_co_u32_e32 v34, vcc, v34, v28
	v_addc_co_u32_e32 v35, vcc, 0, v29, vcc
	v_mad_u64_u32 v[28:29], s[4:5], v31, v33, 0
	v_mad_u64_u32 v[32:33], s[4:5], v31, v32, 0
	v_add_co_u32_e32 v32, vcc, v34, v32
	v_addc_co_u32_e32 v32, vcc, v35, v33, vcc
	v_addc_co_u32_e32 v29, vcc, 0, v29, vcc
	v_add_co_u32_e32 v32, vcc, v32, v28
	v_addc_co_u32_e32 v33, vcc, 0, v29, vcc
	v_mul_lo_u32 v34, s51, v32
	v_mul_lo_u32 v35, s50, v33
	v_mad_u64_u32 v[28:29], s[4:5], s50, v32, 0
	v_add3_u32 v29, v29, v35, v34
	v_sub_u32_e32 v34, v31, v29
	v_mov_b32_e32 v35, s51
	v_sub_co_u32_e32 v28, vcc, v30, v28
	v_subb_co_u32_e64 v30, s[4:5], v34, v35, vcc
	v_subrev_co_u32_e64 v34, s[4:5], s50, v28
	v_subbrev_co_u32_e64 v30, s[4:5], 0, v30, s[4:5]
	v_cmp_le_u32_e64 s[4:5], s51, v30
	v_cndmask_b32_e64 v35, 0, -1, s[4:5]
	v_cmp_le_u32_e64 s[4:5], s50, v34
	v_cndmask_b32_e64 v34, 0, -1, s[4:5]
	v_cmp_eq_u32_e64 s[4:5], s51, v30
	v_cndmask_b32_e64 v30, v35, v34, s[4:5]
	v_add_co_u32_e64 v34, s[4:5], 2, v32
	v_subb_co_u32_e32 v29, vcc, v31, v29, vcc
	v_addc_co_u32_e64 v35, s[4:5], 0, v33, s[4:5]
	v_cmp_le_u32_e32 vcc, s51, v29
	v_add_co_u32_e64 v36, s[4:5], 1, v32
	v_cndmask_b32_e64 v31, 0, -1, vcc
	v_cmp_le_u32_e32 vcc, s50, v28
	v_addc_co_u32_e64 v37, s[4:5], 0, v33, s[4:5]
	v_cndmask_b32_e64 v28, 0, -1, vcc
	v_cmp_eq_u32_e32 vcc, s51, v29
	v_cmp_ne_u32_e64 s[4:5], 0, v30
	v_cndmask_b32_e32 v28, v31, v28, vcc
	v_cndmask_b32_e64 v30, v37, v35, s[4:5]
	v_cmp_ne_u32_e32 vcc, 0, v28
	v_cndmask_b32_e64 v28, v36, v34, s[4:5]
	v_cndmask_b32_e32 v29, v33, v30, vcc
	v_cndmask_b32_e32 v28, v32, v28, vcc
                                        ; implicit-def: $vgpr30
.LBB39_89:
	s_andn2_saveexec_b64 s[4:5], s[64:65]
	s_cbranch_execz .LBB39_91
; %bb.90:
	v_cvt_f32_u32_e32 v28, s50
	s_sub_i32 s64, 0, s50
	v_rcp_iflag_f32_e32 v28, v28
	v_mul_f32_e32 v28, 0x4f7ffffe, v28
	v_cvt_u32_f32_e32 v28, v28
	v_mul_lo_u32 v29, s64, v28
	v_mul_hi_u32 v29, v28, v29
	v_add_u32_e32 v28, v28, v29
	v_mul_hi_u32 v28, v30, v28
	v_mul_lo_u32 v29, v28, s50
	v_sub_u32_e32 v29, v30, v29
	v_add_u32_e32 v31, 1, v28
	v_subrev_u32_e32 v30, s50, v29
	v_cmp_le_u32_e32 vcc, s50, v29
	v_cndmask_b32_e32 v29, v29, v30, vcc
	v_cndmask_b32_e32 v28, v28, v31, vcc
	v_add_u32_e32 v30, 1, v28
	v_cmp_le_u32_e32 vcc, s50, v29
	v_cndmask_b32_e32 v28, v28, v30, vcc
	v_mov_b32_e32 v29, 0
.LBB39_91:
	s_or_b64 exec, exec, s[4:5]
.LBB39_92:
	s_or_b64 exec, exec, s[40:41]
	v_lshlrev_b32_e32 v30, 3, v0
	s_movk_i32 s4, 0x68
	ds_write2st64_b64 v30, v[2:3], v[4:5] offset1:4
	ds_write2st64_b64 v30, v[6:7], v[8:9] offset0:8 offset1:12
	ds_write2st64_b64 v30, v[10:11], v[12:13] offset0:16 offset1:20
	;; [unrolled: 1-line block ×6, first 2 shown]
	v_mad_u32_u24 v2, v0, s4, v30
	s_waitcnt lgkmcnt(0)
	s_barrier
	ds_read_b128 v[50:53], v2
	ds_read_b128 v[46:49], v2 offset:16
	ds_read_b128 v[42:45], v2 offset:32
	;; [unrolled: 1-line block ×6, first 2 shown]
	s_cmp_eq_u64 s[62:63], 0
	s_cbranch_scc1 .LBB39_101
; %bb.93:
	s_andn2_b64 vcc, exec, s[54:55]
	s_cbranch_vccnz .LBB39_97
; %bb.94:
	s_lshl_b64 s[4:5], s[62:63], 3
	s_add_u32 s4, s46, s4
	s_addc_u32 s5, s47, s5
	s_add_u32 s4, s4, -8
	s_addc_u32 s5, s5, -1
	s_load_dwordx2 s[4:5], s[4:5], 0x0
	s_waitcnt lgkmcnt(0)
	v_pk_mov_b32 v[54:55], s[4:5], s[4:5] op_sel:[0,1]
	s_cbranch_execz .LBB39_98
	s_branch .LBB39_101
.LBB39_95:
                                        ; implicit-def: $sgpr16_sgpr17
                                        ; implicit-def: $vgpr2_vgpr3_vgpr4_vgpr5_vgpr6_vgpr7_vgpr8_vgpr9
                                        ; implicit-def: $vgpr10_vgpr11_vgpr12_vgpr13_vgpr14_vgpr15_vgpr16_vgpr17
                                        ; implicit-def: $vgpr18_vgpr19_vgpr20_vgpr21_vgpr22_vgpr23_vgpr24_vgpr25
                                        ; implicit-def: $vgpr59
                                        ; implicit-def: $vgpr56_vgpr57
	s_and_b64 vcc, exec, s[12:13]
	s_cbranch_vccnz .LBB39_145
	s_branch .LBB39_229
.LBB39_96:
                                        ; implicit-def: $vgpr54_vgpr55
	s_branch .LBB39_7
.LBB39_97:
                                        ; implicit-def: $sgpr4_sgpr5
	v_pk_mov_b32 v[54:55], s[4:5], s[4:5] op_sel:[0,1]
.LBB39_98:
	s_add_u32 s40, s52, -1
	s_addc_u32 s41, s53, -1
	s_or_b64 s[4:5], s[40:41], s[50:51]
	s_mov_b32 s4, 0
	s_cmp_lg_u64 s[4:5], 0
	s_mov_b64 s[64:65], -1
	s_cbranch_scc0 .LBB39_310
; %bb.99:
	v_cvt_f32_u32_e32 v3, s50
	v_cvt_f32_u32_e32 v4, s51
	s_sub_u32 s4, 0, s50
	s_subb_u32 s5, 0, s51
	v_madmk_f32 v3, v4, 0x4f800000, v3
	v_rcp_f32_e32 v3, v3
	v_mul_f32_e32 v3, 0x5f7ffffc, v3
	v_mul_f32_e32 v4, 0x2f800000, v3
	v_trunc_f32_e32 v4, v4
	v_madmk_f32 v3, v4, 0xcf800000, v3
	v_cvt_u32_f32_e32 v4, v4
	v_cvt_u32_f32_e32 v3, v3
	v_readfirstlane_b32 s69, v4
	v_readfirstlane_b32 s70, v3
	s_mul_i32 s71, s4, s69
	s_mul_hi_u32 s73, s4, s70
	s_mul_i32 s72, s5, s70
	s_add_i32 s71, s73, s71
	s_add_i32 s71, s71, s72
	s_mul_i32 s74, s4, s70
	s_mul_hi_u32 s72, s70, s71
	s_mul_i32 s73, s70, s71
	s_mul_hi_u32 s70, s70, s74
	s_add_u32 s70, s70, s73
	s_addc_u32 s72, 0, s72
	s_mul_hi_u32 s75, s69, s74
	s_mul_i32 s74, s69, s74
	s_add_u32 s70, s70, s74
	s_mul_hi_u32 s73, s69, s71
	s_addc_u32 s70, s72, s75
	s_addc_u32 s72, s73, 0
	s_mul_i32 s71, s69, s71
	s_add_u32 s70, s70, s71
	s_addc_u32 s71, 0, s72
	v_add_co_u32_e32 v3, vcc, s70, v3
	s_cmp_lg_u64 vcc, 0
	s_addc_u32 s69, s69, s71
	v_readfirstlane_b32 s71, v3
	s_mul_i32 s70, s4, s69
	s_mul_hi_u32 s72, s4, s71
	s_add_i32 s70, s72, s70
	s_mul_i32 s5, s5, s71
	s_add_i32 s70, s70, s5
	s_mul_i32 s4, s4, s71
	s_mul_hi_u32 s72, s69, s4
	s_mul_i32 s73, s69, s4
	s_mul_i32 s75, s71, s70
	s_mul_hi_u32 s4, s71, s4
	s_mul_hi_u32 s74, s71, s70
	s_add_u32 s4, s4, s75
	s_addc_u32 s71, 0, s74
	s_add_u32 s4, s4, s73
	s_mul_hi_u32 s5, s69, s70
	s_addc_u32 s4, s71, s72
	s_addc_u32 s5, s5, 0
	s_mul_i32 s70, s69, s70
	s_add_u32 s4, s4, s70
	s_addc_u32 s5, 0, s5
	v_add_co_u32_e32 v3, vcc, s4, v3
	s_cmp_lg_u64 vcc, 0
	s_addc_u32 s4, s69, s5
	v_readfirstlane_b32 s70, v3
	s_mul_i32 s69, s40, s4
	s_mul_hi_u32 s71, s40, s70
	s_mul_hi_u32 s5, s40, s4
	s_add_u32 s69, s71, s69
	s_addc_u32 s5, 0, s5
	s_mul_hi_u32 s72, s41, s70
	s_mul_i32 s70, s41, s70
	s_add_u32 s69, s69, s70
	s_mul_hi_u32 s71, s41, s4
	s_addc_u32 s5, s5, s72
	s_addc_u32 s69, s71, 0
	s_mul_i32 s4, s41, s4
	s_add_u32 s70, s5, s4
	s_addc_u32 s69, 0, s69
	s_mul_i32 s4, s50, s69
	s_mul_hi_u32 s5, s50, s70
	s_add_i32 s4, s5, s4
	s_mul_i32 s5, s51, s70
	s_add_i32 s71, s4, s5
	s_mul_i32 s5, s50, s70
	v_mov_b32_e32 v3, s5
	s_sub_i32 s4, s41, s71
	v_sub_co_u32_e32 v3, vcc, s40, v3
	s_cmp_lg_u64 vcc, 0
	s_subb_u32 s72, s4, s51
	v_subrev_co_u32_e64 v4, s[4:5], s50, v3
	s_cmp_lg_u64 s[4:5], 0
	s_subb_u32 s72, s72, 0
	s_cmp_ge_u32 s72, s51
	s_cselect_b32 s73, -1, 0
	v_cmp_le_u32_e64 s[4:5], s50, v4
	s_cmp_eq_u32 s72, s51
	v_cndmask_b32_e64 v4, 0, -1, s[4:5]
	v_mov_b32_e32 v5, s73
	s_cselect_b64 s[4:5], -1, 0
	v_cndmask_b32_e64 v4, v5, v4, s[4:5]
	s_add_u32 s4, s70, 1
	s_addc_u32 s72, s69, 0
	s_add_u32 s5, s70, 2
	s_addc_u32 s73, s69, 0
	v_mov_b32_e32 v5, s4
	v_mov_b32_e32 v6, s5
	v_cmp_ne_u32_e64 s[4:5], 0, v4
	v_cndmask_b32_e64 v4, v5, v6, s[4:5]
	v_mov_b32_e32 v5, s72
	v_mov_b32_e32 v6, s73
	s_cmp_lg_u64 vcc, 0
	v_cndmask_b32_e64 v5, v5, v6, s[4:5]
	s_subb_u32 s4, s41, s71
	s_cmp_ge_u32 s4, s51
	s_cselect_b32 s5, -1, 0
	v_cmp_le_u32_e32 vcc, s50, v3
	s_cmp_eq_u32 s4, s51
	v_cndmask_b32_e64 v3, 0, -1, vcc
	v_mov_b32_e32 v6, s5
	s_cselect_b64 vcc, -1, 0
	v_cndmask_b32_e32 v3, v6, v3, vcc
	v_mov_b32_e32 v6, s69
	v_cmp_ne_u32_e32 vcc, 0, v3
	v_mov_b32_e32 v3, s70
	v_cndmask_b32_e32 v55, v6, v5, vcc
	v_cndmask_b32_e32 v54, v3, v4, vcc
	s_cbranch_execnz .LBB39_101
.LBB39_100:
	v_cvt_f32_u32_e32 v3, s50
	s_sub_i32 s4, 0, s50
	s_mov_b32 s5, 0
	v_rcp_iflag_f32_e32 v3, v3
	v_mul_f32_e32 v3, 0x4f7ffffe, v3
	v_cvt_u32_f32_e32 v3, v3
	v_readfirstlane_b32 s41, v3
	s_mul_i32 s4, s4, s41
	s_mul_hi_u32 s4, s41, s4
	s_add_i32 s41, s41, s4
	s_mul_hi_u32 s4, s40, s41
	s_mul_i32 s64, s4, s50
	s_sub_i32 s40, s40, s64
	s_add_i32 s41, s4, 1
	s_sub_i32 s64, s40, s50
	s_cmp_ge_u32 s40, s50
	s_cselect_b32 s4, s41, s4
	s_cselect_b32 s40, s64, s40
	s_add_i32 s41, s4, 1
	s_cmp_ge_u32 s40, s50
	s_cselect_b32 s4, s41, s4
	v_pk_mov_b32 v[54:55], s[4:5], s[4:5] op_sel:[0,1]
.LBB39_101:
	s_movk_i32 s4, 0xff98
	v_mad_i32_i24 v2, v0, s4, v2
	s_waitcnt lgkmcnt(0)
	ds_write_b64 v2, v[32:33] offset:28672
	s_waitcnt lgkmcnt(0)
	s_barrier
	s_and_saveexec_b64 s[4:5], s[36:37]
	s_cbranch_execz .LBB39_103
; %bb.102:
	ds_read_b64 v[54:55], v2 offset:28664
.LBB39_103:
	s_or_b64 exec, exec, s[4:5]
	s_waitcnt lgkmcnt(0)
	s_barrier
	s_waitcnt lgkmcnt(0)
                                        ; implicit-def: $vgpr3
	s_and_saveexec_b64 s[4:5], s[6:7]
	s_cbranch_execnz .LBB39_204
; %bb.104:
	s_or_b64 exec, exec, s[4:5]
                                        ; implicit-def: $vgpr4
	s_and_saveexec_b64 s[4:5], s[8:9]
	s_cbranch_execnz .LBB39_205
.LBB39_105:
	s_or_b64 exec, exec, s[4:5]
                                        ; implicit-def: $vgpr5
	s_and_saveexec_b64 s[4:5], s[10:11]
	s_cbranch_execnz .LBB39_206
.LBB39_106:
	s_or_b64 exec, exec, s[4:5]
                                        ; implicit-def: $vgpr6
	s_and_saveexec_b64 s[4:5], s[12:13]
	s_cbranch_execnz .LBB39_207
.LBB39_107:
	s_or_b64 exec, exec, s[4:5]
                                        ; implicit-def: $vgpr7
	s_and_saveexec_b64 s[4:5], s[14:15]
	s_cbranch_execnz .LBB39_208
.LBB39_108:
	s_or_b64 exec, exec, s[4:5]
                                        ; implicit-def: $vgpr8
	s_and_saveexec_b64 s[4:5], s[16:17]
	s_cbranch_execnz .LBB39_209
.LBB39_109:
	s_or_b64 exec, exec, s[4:5]
                                        ; implicit-def: $vgpr9
	s_and_saveexec_b64 s[4:5], s[18:19]
	s_cbranch_execnz .LBB39_210
.LBB39_110:
	s_or_b64 exec, exec, s[4:5]
                                        ; implicit-def: $vgpr10
	s_and_saveexec_b64 s[4:5], s[20:21]
	s_cbranch_execnz .LBB39_211
.LBB39_111:
	s_or_b64 exec, exec, s[4:5]
                                        ; implicit-def: $vgpr11
	s_and_saveexec_b64 s[4:5], s[22:23]
	s_cbranch_execnz .LBB39_212
.LBB39_112:
	s_or_b64 exec, exec, s[4:5]
                                        ; implicit-def: $vgpr12
	s_and_saveexec_b64 s[4:5], s[24:25]
	s_cbranch_execnz .LBB39_213
.LBB39_113:
	s_or_b64 exec, exec, s[4:5]
                                        ; implicit-def: $vgpr13
	s_and_saveexec_b64 s[4:5], s[26:27]
	s_cbranch_execnz .LBB39_214
.LBB39_114:
	s_or_b64 exec, exec, s[4:5]
                                        ; implicit-def: $vgpr14
	s_and_saveexec_b64 s[4:5], s[28:29]
	s_cbranch_execnz .LBB39_215
.LBB39_115:
	s_or_b64 exec, exec, s[4:5]
                                        ; implicit-def: $vgpr15
	s_and_saveexec_b64 s[4:5], s[30:31]
	s_cbranch_execnz .LBB39_216
.LBB39_116:
	s_or_b64 exec, exec, s[4:5]
                                        ; implicit-def: $vgpr16
	s_and_saveexec_b64 s[4:5], s[34:35]
	s_cbranch_execz .LBB39_118
.LBB39_117:
	v_lshlrev_b32_e32 v1, 2, v64
	v_mov_b32_e32 v17, s67
	v_add_co_u32_e32 v16, vcc, s66, v1
	v_addc_co_u32_e32 v17, vcc, 0, v17, vcc
	flat_load_dword v16, v[16:17]
.LBB39_118:
	s_or_b64 exec, exec, s[4:5]
	v_lshlrev_b32_e32 v17, 2, v0
	s_mov_b32 s4, 0
	v_sub_u32_e32 v58, v2, v17
	s_mov_b32 s5, s4
	s_waitcnt vmcnt(0) lgkmcnt(0)
	ds_write2st64_b32 v58, v3, v4 offset1:4
	ds_write2st64_b32 v58, v5, v6 offset0:8 offset1:12
	ds_write2st64_b32 v58, v7, v8 offset0:16 offset1:20
	;; [unrolled: 1-line block ×6, first 2 shown]
	s_mov_b32 s6, s4
	s_mov_b32 s7, s4
	;; [unrolled: 1-line block ×6, first 2 shown]
	v_pk_mov_b32 v[2:3], s[4:5], s[4:5] op_sel:[0,1]
	v_pk_mov_b32 v[8:9], s[10:11], s[10:11] op_sel:[0,1]
	v_mul_u32_u24_e32 v1, 14, v0
	v_pk_mov_b32 v[4:5], s[6:7], s[6:7] op_sel:[0,1]
	v_pk_mov_b32 v[6:7], s[8:9], s[8:9] op_sel:[0,1]
	;; [unrolled: 1-line block ×4, first 2 shown]
	v_cmp_gt_u32_e32 vcc, s68, v1
	s_mov_b64 s[12:13], 0
	v_pk_mov_b32 v[56:57], 0, 0
	s_mov_b64 s[18:19], 0
	v_pk_mov_b32 v[14:15], v[6:7], v[6:7] op_sel:[0,1]
	v_pk_mov_b32 v[12:13], v[4:5], v[4:5] op_sel:[0,1]
	v_pk_mov_b32 v[10:11], v[2:3], v[2:3] op_sel:[0,1]
	v_pk_mov_b32 v[22:23], v[6:7], v[6:7] op_sel:[0,1]
	v_pk_mov_b32 v[20:21], v[4:5], v[4:5] op_sel:[0,1]
	v_pk_mov_b32 v[18:19], v[2:3], v[2:3] op_sel:[0,1]
	s_waitcnt lgkmcnt(0)
	s_barrier
	s_waitcnt lgkmcnt(0)
                                        ; implicit-def: $sgpr16_sgpr17
                                        ; implicit-def: $vgpr59
	s_and_saveexec_b64 s[14:15], vcc
	s_cbranch_execz .LBB39_144
; %bb.119:
	v_mad_u32_u24 v3, v0, 52, v58
	v_or_b32_e32 v2, 1, v1
	ds_read_b32 v56, v3
	v_cmp_ne_u64_e32 vcc, v[54:55], v[50:51]
	v_cndmask_b32_e64 v57, 0, 1, vcc
	v_cmp_gt_u32_e32 vcc, s68, v2
	v_pk_mov_b32 v[2:3], s[4:5], s[4:5] op_sel:[0,1]
	v_pk_mov_b32 v[8:9], s[10:11], s[10:11] op_sel:[0,1]
	;; [unrolled: 1-line block ×12, first 2 shown]
                                        ; implicit-def: $sgpr4_sgpr5
                                        ; implicit-def: $vgpr59
	s_and_saveexec_b64 s[16:17], vcc
	s_cbranch_execz .LBB39_143
; %bb.120:
	v_mul_u32_u24_e32 v2, 52, v0
	v_add_u32_e32 v58, v58, v2
	ds_read2_b32 v[54:55], v58 offset0:1 offset1:2
	s_mov_b32 s4, 0
	s_mov_b32 s10, s4
	;; [unrolled: 1-line block ×8, first 2 shown]
	v_pk_mov_b32 v[16:17], s[10:11], s[10:11] op_sel:[0,1]
	v_add_u32_e32 v2, 2, v1
	v_cmp_ne_u64_e32 vcc, v[50:51], v[52:53]
	v_mov_b32_e32 v6, 0
	v_pk_mov_b32 v[14:15], s[8:9], s[8:9] op_sel:[0,1]
	v_pk_mov_b32 v[12:13], s[6:7], s[6:7] op_sel:[0,1]
	;; [unrolled: 1-line block ×4, first 2 shown]
	v_cndmask_b32_e64 v3, 0, 1, vcc
	v_cmp_gt_u32_e32 vcc, s68, v2
	s_waitcnt lgkmcnt(0)
	v_mov_b32_e32 v2, v54
	v_mov_b32_e32 v4, v6
	;; [unrolled: 1-line block ×6, first 2 shown]
	s_mov_b64 s[20:21], 0
	v_pk_mov_b32 v[22:23], v[14:15], v[14:15] op_sel:[0,1]
	v_pk_mov_b32 v[20:21], v[12:13], v[12:13] op_sel:[0,1]
	;; [unrolled: 1-line block ×3, first 2 shown]
                                        ; implicit-def: $sgpr24_sgpr25
                                        ; implicit-def: $vgpr59
	s_and_saveexec_b64 s[18:19], vcc
	s_cbranch_execz .LBB39_142
; %bb.121:
	v_pk_mov_b32 v[16:17], s[10:11], s[10:11] op_sel:[0,1]
	v_add_u32_e32 v2, 3, v1
	v_cmp_ne_u64_e32 vcc, v[52:53], v[46:47]
	v_pk_mov_b32 v[14:15], s[8:9], s[8:9] op_sel:[0,1]
	v_pk_mov_b32 v[12:13], s[6:7], s[6:7] op_sel:[0,1]
	;; [unrolled: 1-line block ×4, first 2 shown]
	v_cndmask_b32_e64 v5, 0, 1, vcc
	v_cmp_gt_u32_e32 vcc, s68, v2
	v_mov_b32_e32 v2, v54
	v_mov_b32_e32 v4, v55
	;; [unrolled: 1-line block ×5, first 2 shown]
	s_mov_b64 s[22:23], 0
	v_pk_mov_b32 v[22:23], v[14:15], v[14:15] op_sel:[0,1]
	v_pk_mov_b32 v[20:21], v[12:13], v[12:13] op_sel:[0,1]
	;; [unrolled: 1-line block ×3, first 2 shown]
                                        ; implicit-def: $sgpr4_sgpr5
                                        ; implicit-def: $vgpr59
	s_and_saveexec_b64 s[20:21], vcc
	s_cbranch_execz .LBB39_141
; %bb.122:
	ds_read2_b32 v[50:51], v58 offset0:3 offset1:4
	s_mov_b32 s4, 0
	s_mov_b32 s10, s4
	;; [unrolled: 1-line block ×8, first 2 shown]
	v_pk_mov_b32 v[16:17], s[10:11], s[10:11] op_sel:[0,1]
	v_add_u32_e32 v6, 4, v1
	v_cmp_ne_u64_e32 vcc, v[46:47], v[48:49]
	v_pk_mov_b32 v[14:15], s[8:9], s[8:9] op_sel:[0,1]
	v_pk_mov_b32 v[12:13], s[6:7], s[6:7] op_sel:[0,1]
	;; [unrolled: 1-line block ×4, first 2 shown]
	v_cndmask_b32_e64 v7, 0, 1, vcc
	v_cmp_gt_u32_e32 vcc, s68, v6
	s_waitcnt lgkmcnt(0)
	v_mov_b32_e32 v6, v50
	v_mov_b32_e32 v8, s4
	;; [unrolled: 1-line block ×3, first 2 shown]
	s_mov_b64 s[24:25], 0
	v_pk_mov_b32 v[22:23], v[14:15], v[14:15] op_sel:[0,1]
	v_pk_mov_b32 v[20:21], v[12:13], v[12:13] op_sel:[0,1]
	;; [unrolled: 1-line block ×3, first 2 shown]
                                        ; implicit-def: $sgpr26_sgpr27
                                        ; implicit-def: $vgpr59
	s_and_saveexec_b64 s[22:23], vcc
	s_cbranch_execz .LBB39_140
; %bb.123:
	v_pk_mov_b32 v[16:17], s[10:11], s[10:11] op_sel:[0,1]
	v_add_u32_e32 v8, 5, v1
	v_cmp_ne_u64_e32 vcc, v[48:49], v[42:43]
	v_pk_mov_b32 v[14:15], s[8:9], s[8:9] op_sel:[0,1]
	v_pk_mov_b32 v[12:13], s[6:7], s[6:7] op_sel:[0,1]
	;; [unrolled: 1-line block ×4, first 2 shown]
	v_cndmask_b32_e64 v9, 0, 1, vcc
	v_cmp_gt_u32_e32 vcc, s68, v8
	v_mov_b32_e32 v8, v51
	s_mov_b64 s[28:29], 0
	v_pk_mov_b32 v[22:23], v[14:15], v[14:15] op_sel:[0,1]
	v_pk_mov_b32 v[20:21], v[12:13], v[12:13] op_sel:[0,1]
	;; [unrolled: 1-line block ×3, first 2 shown]
                                        ; implicit-def: $sgpr4_sgpr5
                                        ; implicit-def: $vgpr59
	s_and_saveexec_b64 s[24:25], vcc
	s_cbranch_execz .LBB39_139
; %bb.124:
	ds_read2_b32 v[46:47], v58 offset0:5 offset1:6
	s_mov_b32 s4, 0
	s_mov_b32 s10, s4
	;; [unrolled: 1-line block ×3, first 2 shown]
	v_add_u32_e32 v10, 6, v1
	v_cmp_ne_u64_e32 vcc, v[42:43], v[44:45]
	v_mov_b32_e32 v14, 0
	s_mov_b32 s5, s4
	s_mov_b32 s6, s4
	;; [unrolled: 1-line block ×5, first 2 shown]
	v_pk_mov_b32 v[24:25], s[10:11], s[10:11] op_sel:[0,1]
	v_cndmask_b32_e64 v11, 0, 1, vcc
	v_cmp_gt_u32_e32 vcc, s68, v10
	s_waitcnt lgkmcnt(0)
	v_mov_b32_e32 v10, v46
	v_mov_b32_e32 v12, v14
	;; [unrolled: 1-line block ×6, first 2 shown]
	v_pk_mov_b32 v[22:23], s[8:9], s[8:9] op_sel:[0,1]
	v_pk_mov_b32 v[20:21], s[6:7], s[6:7] op_sel:[0,1]
	;; [unrolled: 1-line block ×3, first 2 shown]
                                        ; implicit-def: $sgpr34_sgpr35
                                        ; implicit-def: $vgpr59
	s_and_saveexec_b64 s[26:27], vcc
	s_cbranch_execz .LBB39_138
; %bb.125:
	v_add_u32_e32 v10, 7, v1
	v_cmp_ne_u64_e32 vcc, v[44:45], v[38:39]
	v_pk_mov_b32 v[24:25], s[10:11], s[10:11] op_sel:[0,1]
	v_cndmask_b32_e64 v13, 0, 1, vcc
	v_cmp_gt_u32_e32 vcc, s68, v10
	v_mov_b32_e32 v10, v46
	v_mov_b32_e32 v12, v47
	;; [unrolled: 1-line block ×5, first 2 shown]
	s_mov_b64 s[30:31], 0
	v_pk_mov_b32 v[22:23], s[8:9], s[8:9] op_sel:[0,1]
	v_pk_mov_b32 v[20:21], s[6:7], s[6:7] op_sel:[0,1]
	;; [unrolled: 1-line block ×3, first 2 shown]
                                        ; implicit-def: $sgpr4_sgpr5
                                        ; implicit-def: $vgpr59
	s_and_saveexec_b64 s[28:29], vcc
	s_cbranch_execz .LBB39_137
; %bb.126:
	ds_read2_b32 v[42:43], v58 offset0:7 offset1:8
	s_mov_b32 s4, 0
	s_mov_b32 s10, s4
	s_mov_b32 s11, s4
	v_add_u32_e32 v14, 8, v1
	v_cmp_ne_u64_e32 vcc, v[38:39], v[40:41]
	s_mov_b32 s5, s4
	s_mov_b32 s6, s4
	;; [unrolled: 1-line block ×5, first 2 shown]
	v_pk_mov_b32 v[24:25], s[10:11], s[10:11] op_sel:[0,1]
	v_cndmask_b32_e64 v15, 0, 1, vcc
	v_cmp_gt_u32_e32 vcc, s68, v14
	s_waitcnt lgkmcnt(0)
	v_mov_b32_e32 v14, v42
	v_mov_b32_e32 v16, s4
	;; [unrolled: 1-line block ×3, first 2 shown]
	s_mov_b64 s[34:35], 0
	v_pk_mov_b32 v[22:23], s[8:9], s[8:9] op_sel:[0,1]
	v_pk_mov_b32 v[20:21], s[6:7], s[6:7] op_sel:[0,1]
	v_pk_mov_b32 v[18:19], s[4:5], s[4:5] op_sel:[0,1]
                                        ; implicit-def: $sgpr40_sgpr41
                                        ; implicit-def: $vgpr59
	s_and_saveexec_b64 s[30:31], vcc
	s_cbranch_execz .LBB39_136
; %bb.127:
	v_add_u32_e32 v16, 9, v1
	v_cmp_ne_u64_e32 vcc, v[40:41], v[34:35]
	v_pk_mov_b32 v[24:25], s[10:11], s[10:11] op_sel:[0,1]
	v_cndmask_b32_e64 v17, 0, 1, vcc
	v_cmp_gt_u32_e32 vcc, s68, v16
	v_mov_b32_e32 v16, v43
	v_pk_mov_b32 v[22:23], s[8:9], s[8:9] op_sel:[0,1]
	v_pk_mov_b32 v[20:21], s[6:7], s[6:7] op_sel:[0,1]
	;; [unrolled: 1-line block ×3, first 2 shown]
                                        ; implicit-def: $sgpr8_sgpr9
                                        ; implicit-def: $vgpr59
	s_and_saveexec_b64 s[6:7], vcc
	s_cbranch_execz .LBB39_135
; %bb.128:
	ds_read2_b32 v[38:39], v58 offset0:9 offset1:10
	v_add_u32_e32 v18, 10, v1
	v_cmp_ne_u64_e32 vcc, v[34:35], v[36:37]
	v_mov_b32_e32 v22, 0
	v_cndmask_b32_e64 v19, 0, 1, vcc
	v_cmp_gt_u32_e32 vcc, s68, v18
	s_waitcnt lgkmcnt(0)
	v_mov_b32_e32 v18, v38
	v_mov_b32_e32 v20, v22
	;; [unrolled: 1-line block ×6, first 2 shown]
	s_mov_b64 s[4:5], 0
                                        ; implicit-def: $sgpr10_sgpr11
                                        ; implicit-def: $vgpr59
	s_and_saveexec_b64 s[8:9], vcc
	s_cbranch_execz .LBB39_134
; %bb.129:
	v_add_u32_e32 v18, 11, v1
	v_cmp_ne_u64_e32 vcc, v[36:37], v[26:27]
	v_cndmask_b32_e64 v21, 0, 1, vcc
	v_cmp_gt_u32_e32 vcc, s68, v18
	s_mov_b32 s40, 0
	v_mov_b32_e32 v18, v38
	v_mov_b32_e32 v20, v39
	;; [unrolled: 1-line block ×5, first 2 shown]
                                        ; implicit-def: $sgpr34_sgpr35
                                        ; implicit-def: $vgpr59
	s_and_saveexec_b64 s[10:11], vcc
	s_cbranch_execz .LBB39_133
; %bb.130:
	ds_read2_b32 v[34:35], v58 offset0:11 offset1:12
	v_add_u32_e32 v22, 12, v1
	v_cmp_ne_u64_e32 vcc, v[26:27], v[28:29]
	v_cndmask_b32_e64 v23, 0, 1, vcc
	v_cmp_gt_u32_e32 vcc, s68, v22
	s_waitcnt lgkmcnt(0)
	v_mov_b32_e32 v22, v34
	v_mov_b32_e32 v24, s40
	;; [unrolled: 1-line block ×3, first 2 shown]
                                        ; implicit-def: $sgpr34_sgpr35
                                        ; implicit-def: $vgpr59
	s_and_saveexec_b64 s[40:41], vcc
	s_xor_b64 s[40:41], exec, s[40:41]
	s_cbranch_execz .LBB39_132
; %bb.131:
	ds_read_b32 v59, v58 offset:52
	v_add_u32_e32 v1, 13, v1
	v_cmp_ne_u64_e64 s[4:5], v[28:29], v[30:31]
	v_cmp_ne_u64_e32 vcc, v[30:31], v[32:33]
	v_cndmask_b32_e64 v25, 0, 1, s[4:5]
	v_cmp_gt_u32_e64 s[4:5], s68, v1
	v_mov_b32_e32 v24, v35
	s_and_b64 s[34:35], vcc, exec
	s_and_b64 s[4:5], s[4:5], exec
.LBB39_132:
	s_or_b64 exec, exec, s[40:41]
	s_and_b64 s[34:35], s[34:35], exec
	s_and_b64 s[4:5], s[4:5], exec
.LBB39_133:
	s_or_b64 exec, exec, s[10:11]
	s_and_b64 s[10:11], s[34:35], exec
	s_and_b64 s[4:5], s[4:5], exec
.LBB39_134:
	s_or_b64 exec, exec, s[8:9]
	s_and_b64 s[8:9], s[10:11], exec
	s_and_b64 s[34:35], s[4:5], exec
.LBB39_135:
	s_or_b64 exec, exec, s[6:7]
	s_and_b64 s[40:41], s[8:9], exec
	s_and_b64 s[34:35], s[34:35], exec
.LBB39_136:
	s_or_b64 exec, exec, s[30:31]
	s_and_b64 s[4:5], s[40:41], exec
	s_and_b64 s[30:31], s[34:35], exec
.LBB39_137:
	s_or_b64 exec, exec, s[28:29]
	s_and_b64 s[34:35], s[4:5], exec
	s_and_b64 s[28:29], s[30:31], exec
.LBB39_138:
	s_or_b64 exec, exec, s[26:27]
	s_and_b64 s[4:5], s[34:35], exec
	s_and_b64 s[28:29], s[28:29], exec
.LBB39_139:
	s_or_b64 exec, exec, s[24:25]
	s_and_b64 s[26:27], s[4:5], exec
	s_and_b64 s[24:25], s[28:29], exec
.LBB39_140:
	s_or_b64 exec, exec, s[22:23]
	s_and_b64 s[4:5], s[26:27], exec
	s_and_b64 s[22:23], s[24:25], exec
.LBB39_141:
	s_or_b64 exec, exec, s[20:21]
	s_and_b64 s[24:25], s[4:5], exec
	s_and_b64 s[20:21], s[22:23], exec
.LBB39_142:
	s_or_b64 exec, exec, s[18:19]
	s_and_b64 s[4:5], s[24:25], exec
	s_and_b64 s[18:19], s[20:21], exec
.LBB39_143:
	s_or_b64 exec, exec, s[16:17]
	s_and_b64 s[16:17], s[4:5], exec
	s_and_b64 s[18:19], s[18:19], exec
.LBB39_144:
	s_or_b64 exec, exec, s[14:15]
	s_and_b64 vcc, exec, s[12:13]
	s_cbranch_vccz .LBB39_229
.LBB39_145:
	v_mov_b32_e32 v1, s53
	v_add_co_u32_e32 v28, vcc, s52, v0
	v_addc_co_u32_e32 v1, vcc, 0, v1, vcc
	v_mov_b32_e32 v2, 0
	v_or_b32_e32 v3, s51, v1
	v_cmp_ne_u64_e32 vcc, 0, v[2:3]
                                        ; implicit-def: $vgpr2_vgpr3
	s_and_saveexec_b64 s[4:5], vcc
	s_xor_b64 s[6:7], exec, s[4:5]
	s_cbranch_execz .LBB39_147
; %bb.146:
	v_cvt_f32_u32_e32 v2, s50
	v_cvt_f32_u32_e32 v3, s51
	s_sub_u32 s4, 0, s50
	s_subb_u32 s5, 0, s51
	v_madmk_f32 v2, v3, 0x4f800000, v2
	v_rcp_f32_e32 v2, v2
	v_mul_f32_e32 v2, 0x5f7ffffc, v2
	v_mul_f32_e32 v3, 0x2f800000, v2
	v_trunc_f32_e32 v3, v3
	v_madmk_f32 v2, v3, 0xcf800000, v2
	v_cvt_u32_f32_e32 v3, v3
	v_cvt_u32_f32_e32 v2, v2
	v_mul_lo_u32 v4, s4, v3
	v_mul_hi_u32 v6, s4, v2
	v_mul_lo_u32 v5, s5, v2
	v_add_u32_e32 v4, v6, v4
	v_mul_lo_u32 v7, s4, v2
	v_add_u32_e32 v4, v4, v5
	v_mul_hi_u32 v6, v2, v7
	v_mul_lo_u32 v8, v2, v4
	v_mul_hi_u32 v5, v2, v4
	v_add_co_u32_e32 v6, vcc, v6, v8
	v_addc_co_u32_e32 v5, vcc, 0, v5, vcc
	v_mul_hi_u32 v9, v3, v7
	v_mul_lo_u32 v7, v3, v7
	v_add_co_u32_e32 v6, vcc, v6, v7
	v_mul_hi_u32 v8, v3, v4
	v_addc_co_u32_e32 v5, vcc, v5, v9, vcc
	v_addc_co_u32_e32 v6, vcc, 0, v8, vcc
	v_mul_lo_u32 v4, v3, v4
	v_add_co_u32_e32 v4, vcc, v5, v4
	v_addc_co_u32_e32 v5, vcc, 0, v6, vcc
	v_add_co_u32_e32 v2, vcc, v2, v4
	v_addc_co_u32_e32 v3, vcc, v3, v5, vcc
	v_mul_lo_u32 v4, s4, v3
	v_mul_hi_u32 v5, s4, v2
	v_add_u32_e32 v4, v5, v4
	v_mul_lo_u32 v5, s5, v2
	v_add_u32_e32 v4, v4, v5
	v_mul_lo_u32 v6, s4, v2
	v_mul_hi_u32 v7, v3, v6
	v_mul_lo_u32 v8, v3, v6
	v_mul_lo_u32 v10, v2, v4
	v_mul_hi_u32 v6, v2, v6
	v_mul_hi_u32 v9, v2, v4
	v_add_co_u32_e32 v6, vcc, v6, v10
	v_addc_co_u32_e32 v9, vcc, 0, v9, vcc
	v_add_co_u32_e32 v6, vcc, v6, v8
	v_mul_hi_u32 v5, v3, v4
	v_addc_co_u32_e32 v6, vcc, v9, v7, vcc
	v_addc_co_u32_e32 v5, vcc, 0, v5, vcc
	v_mul_lo_u32 v4, v3, v4
	v_add_co_u32_e32 v4, vcc, v6, v4
	v_addc_co_u32_e32 v5, vcc, 0, v5, vcc
	v_add_co_u32_e32 v4, vcc, v2, v4
	v_addc_co_u32_e32 v5, vcc, v3, v5, vcc
	v_mad_u64_u32 v[2:3], s[4:5], v28, v5, 0
	v_mul_hi_u32 v6, v28, v4
	v_add_co_u32_e32 v6, vcc, v6, v2
	v_addc_co_u32_e32 v7, vcc, 0, v3, vcc
	v_mad_u64_u32 v[2:3], s[4:5], v1, v5, 0
	v_mad_u64_u32 v[4:5], s[4:5], v1, v4, 0
	v_add_co_u32_e32 v4, vcc, v6, v4
	v_addc_co_u32_e32 v4, vcc, v7, v5, vcc
	v_addc_co_u32_e32 v3, vcc, 0, v3, vcc
	v_add_co_u32_e32 v4, vcc, v4, v2
	v_addc_co_u32_e32 v5, vcc, 0, v3, vcc
	v_mul_lo_u32 v6, s51, v4
	v_mul_lo_u32 v7, s50, v5
	v_mad_u64_u32 v[2:3], s[4:5], s50, v4, 0
	v_add3_u32 v3, v3, v7, v6
	v_sub_u32_e32 v6, v1, v3
	v_mov_b32_e32 v7, s51
	v_sub_co_u32_e32 v2, vcc, v28, v2
	v_subb_co_u32_e64 v6, s[4:5], v6, v7, vcc
	v_subrev_co_u32_e64 v7, s[4:5], s50, v2
	v_subbrev_co_u32_e64 v6, s[4:5], 0, v6, s[4:5]
	v_cmp_le_u32_e64 s[4:5], s51, v6
	v_cndmask_b32_e64 v8, 0, -1, s[4:5]
	v_cmp_le_u32_e64 s[4:5], s50, v7
	v_cndmask_b32_e64 v7, 0, -1, s[4:5]
	v_cmp_eq_u32_e64 s[4:5], s51, v6
	v_cndmask_b32_e64 v6, v8, v7, s[4:5]
	v_add_co_u32_e64 v7, s[4:5], 2, v4
	v_addc_co_u32_e64 v8, s[4:5], 0, v5, s[4:5]
	v_add_co_u32_e64 v9, s[4:5], 1, v4
	v_addc_co_u32_e64 v10, s[4:5], 0, v5, s[4:5]
	v_subb_co_u32_e32 v3, vcc, v1, v3, vcc
	v_cmp_ne_u32_e64 s[4:5], 0, v6
	v_cmp_le_u32_e32 vcc, s51, v3
	v_cndmask_b32_e64 v6, v10, v8, s[4:5]
	v_cndmask_b32_e64 v8, 0, -1, vcc
	v_cmp_le_u32_e32 vcc, s50, v2
	v_cndmask_b32_e64 v2, 0, -1, vcc
	v_cmp_eq_u32_e32 vcc, s51, v3
	v_cndmask_b32_e32 v2, v8, v2, vcc
	v_cmp_ne_u32_e32 vcc, 0, v2
	v_cndmask_b32_e64 v2, v9, v7, s[4:5]
	v_cndmask_b32_e32 v3, v5, v6, vcc
	v_cndmask_b32_e32 v2, v4, v2, vcc
.LBB39_147:
	s_andn2_saveexec_b64 s[4:5], s[6:7]
	s_cbranch_execz .LBB39_149
; %bb.148:
	v_cvt_f32_u32_e32 v2, s50
	s_sub_i32 s6, 0, s50
	v_rcp_iflag_f32_e32 v2, v2
	v_mul_f32_e32 v2, 0x4f7ffffe, v2
	v_cvt_u32_f32_e32 v2, v2
	v_mul_lo_u32 v3, s6, v2
	v_mul_hi_u32 v3, v2, v3
	v_add_u32_e32 v2, v2, v3
	v_mul_hi_u32 v2, v28, v2
	v_mul_lo_u32 v3, v2, s50
	v_sub_u32_e32 v3, v28, v3
	v_add_u32_e32 v4, 1, v2
	v_subrev_u32_e32 v5, s50, v3
	v_cmp_le_u32_e32 vcc, s50, v3
	v_cndmask_b32_e32 v3, v3, v5, vcc
	v_cndmask_b32_e32 v2, v2, v4, vcc
	v_add_u32_e32 v4, 1, v2
	v_cmp_le_u32_e32 vcc, s50, v3
	v_cndmask_b32_e32 v2, v2, v4, vcc
	v_mov_b32_e32 v3, 0
.LBB39_149:
	s_or_b64 exec, exec, s[4:5]
	v_add_co_u32_e32 v6, vcc, 0x100, v28
	v_addc_co_u32_e32 v7, vcc, 0, v1, vcc
	v_or_b32_e32 v5, s51, v7
	v_mov_b32_e32 v4, 0
	v_cmp_ne_u64_e32 vcc, 0, v[4:5]
                                        ; implicit-def: $vgpr4_vgpr5
	s_and_saveexec_b64 s[4:5], vcc
	s_xor_b64 s[6:7], exec, s[4:5]
	s_cbranch_execz .LBB39_151
; %bb.150:
	v_cvt_f32_u32_e32 v4, s50
	v_cvt_f32_u32_e32 v5, s51
	s_sub_u32 s4, 0, s50
	s_subb_u32 s5, 0, s51
	v_madmk_f32 v4, v5, 0x4f800000, v4
	v_rcp_f32_e32 v4, v4
	v_mul_f32_e32 v4, 0x5f7ffffc, v4
	v_mul_f32_e32 v5, 0x2f800000, v4
	v_trunc_f32_e32 v5, v5
	v_madmk_f32 v4, v5, 0xcf800000, v4
	v_cvt_u32_f32_e32 v5, v5
	v_cvt_u32_f32_e32 v4, v4
	v_mul_lo_u32 v8, s4, v5
	v_mul_hi_u32 v10, s4, v4
	v_mul_lo_u32 v9, s5, v4
	v_add_u32_e32 v8, v10, v8
	v_mul_lo_u32 v11, s4, v4
	v_add_u32_e32 v8, v8, v9
	v_mul_hi_u32 v10, v4, v11
	v_mul_lo_u32 v12, v4, v8
	v_mul_hi_u32 v9, v4, v8
	v_add_co_u32_e32 v10, vcc, v10, v12
	v_addc_co_u32_e32 v9, vcc, 0, v9, vcc
	v_mul_hi_u32 v13, v5, v11
	v_mul_lo_u32 v11, v5, v11
	v_add_co_u32_e32 v10, vcc, v10, v11
	v_mul_hi_u32 v12, v5, v8
	v_addc_co_u32_e32 v9, vcc, v9, v13, vcc
	v_addc_co_u32_e32 v10, vcc, 0, v12, vcc
	v_mul_lo_u32 v8, v5, v8
	v_add_co_u32_e32 v8, vcc, v9, v8
	v_addc_co_u32_e32 v9, vcc, 0, v10, vcc
	v_add_co_u32_e32 v4, vcc, v4, v8
	v_addc_co_u32_e32 v5, vcc, v5, v9, vcc
	v_mul_lo_u32 v8, s4, v5
	v_mul_hi_u32 v9, s4, v4
	v_add_u32_e32 v8, v9, v8
	v_mul_lo_u32 v9, s5, v4
	v_add_u32_e32 v8, v8, v9
	v_mul_lo_u32 v10, s4, v4
	v_mul_hi_u32 v11, v5, v10
	v_mul_lo_u32 v12, v5, v10
	v_mul_lo_u32 v14, v4, v8
	v_mul_hi_u32 v10, v4, v10
	v_mul_hi_u32 v13, v4, v8
	v_add_co_u32_e32 v10, vcc, v10, v14
	v_addc_co_u32_e32 v13, vcc, 0, v13, vcc
	v_add_co_u32_e32 v10, vcc, v10, v12
	v_mul_hi_u32 v9, v5, v8
	v_addc_co_u32_e32 v10, vcc, v13, v11, vcc
	v_addc_co_u32_e32 v9, vcc, 0, v9, vcc
	v_mul_lo_u32 v8, v5, v8
	v_add_co_u32_e32 v8, vcc, v10, v8
	v_addc_co_u32_e32 v9, vcc, 0, v9, vcc
	v_add_co_u32_e32 v8, vcc, v4, v8
	v_addc_co_u32_e32 v9, vcc, v5, v9, vcc
	v_mad_u64_u32 v[4:5], s[4:5], v6, v9, 0
	v_mul_hi_u32 v10, v6, v8
	v_add_co_u32_e32 v10, vcc, v10, v4
	v_addc_co_u32_e32 v11, vcc, 0, v5, vcc
	v_mad_u64_u32 v[4:5], s[4:5], v7, v9, 0
	v_mad_u64_u32 v[8:9], s[4:5], v7, v8, 0
	v_add_co_u32_e32 v8, vcc, v10, v8
	v_addc_co_u32_e32 v8, vcc, v11, v9, vcc
	v_addc_co_u32_e32 v5, vcc, 0, v5, vcc
	v_add_co_u32_e32 v8, vcc, v8, v4
	v_addc_co_u32_e32 v9, vcc, 0, v5, vcc
	v_mul_lo_u32 v10, s51, v8
	v_mul_lo_u32 v11, s50, v9
	v_mad_u64_u32 v[4:5], s[4:5], s50, v8, 0
	v_add3_u32 v5, v5, v11, v10
	v_sub_u32_e32 v10, v7, v5
	v_mov_b32_e32 v11, s51
	v_sub_co_u32_e32 v4, vcc, v6, v4
	v_subb_co_u32_e64 v6, s[4:5], v10, v11, vcc
	v_subrev_co_u32_e64 v10, s[4:5], s50, v4
	v_subbrev_co_u32_e64 v6, s[4:5], 0, v6, s[4:5]
	v_cmp_le_u32_e64 s[4:5], s51, v6
	v_cndmask_b32_e64 v11, 0, -1, s[4:5]
	v_cmp_le_u32_e64 s[4:5], s50, v10
	v_cndmask_b32_e64 v10, 0, -1, s[4:5]
	v_cmp_eq_u32_e64 s[4:5], s51, v6
	v_cndmask_b32_e64 v6, v11, v10, s[4:5]
	v_add_co_u32_e64 v10, s[4:5], 2, v8
	v_subb_co_u32_e32 v5, vcc, v7, v5, vcc
	v_addc_co_u32_e64 v11, s[4:5], 0, v9, s[4:5]
	v_cmp_le_u32_e32 vcc, s51, v5
	v_add_co_u32_e64 v12, s[4:5], 1, v8
	v_cndmask_b32_e64 v7, 0, -1, vcc
	v_cmp_le_u32_e32 vcc, s50, v4
	v_addc_co_u32_e64 v13, s[4:5], 0, v9, s[4:5]
	v_cndmask_b32_e64 v4, 0, -1, vcc
	v_cmp_eq_u32_e32 vcc, s51, v5
	v_cmp_ne_u32_e64 s[4:5], 0, v6
	v_cndmask_b32_e32 v4, v7, v4, vcc
	v_cndmask_b32_e64 v6, v13, v11, s[4:5]
	v_cmp_ne_u32_e32 vcc, 0, v4
	v_cndmask_b32_e64 v4, v12, v10, s[4:5]
	v_cndmask_b32_e32 v5, v9, v6, vcc
	v_cndmask_b32_e32 v4, v8, v4, vcc
                                        ; implicit-def: $vgpr6
.LBB39_151:
	s_andn2_saveexec_b64 s[4:5], s[6:7]
	s_cbranch_execz .LBB39_153
; %bb.152:
	v_cvt_f32_u32_e32 v4, s50
	s_sub_i32 s6, 0, s50
	v_rcp_iflag_f32_e32 v4, v4
	v_mul_f32_e32 v4, 0x4f7ffffe, v4
	v_cvt_u32_f32_e32 v4, v4
	v_mul_lo_u32 v5, s6, v4
	v_mul_hi_u32 v5, v4, v5
	v_add_u32_e32 v4, v4, v5
	v_mul_hi_u32 v4, v6, v4
	v_mul_lo_u32 v5, v4, s50
	v_sub_u32_e32 v5, v6, v5
	v_add_u32_e32 v7, 1, v4
	v_subrev_u32_e32 v6, s50, v5
	v_cmp_le_u32_e32 vcc, s50, v5
	v_cndmask_b32_e32 v5, v5, v6, vcc
	v_cndmask_b32_e32 v4, v4, v7, vcc
	v_add_u32_e32 v6, 1, v4
	v_cmp_le_u32_e32 vcc, s50, v5
	v_cndmask_b32_e32 v4, v4, v6, vcc
	v_mov_b32_e32 v5, 0
.LBB39_153:
	s_or_b64 exec, exec, s[4:5]
	v_add_co_u32_e32 v8, vcc, 0x200, v28
	v_addc_co_u32_e32 v9, vcc, 0, v1, vcc
	v_or_b32_e32 v7, s51, v9
	v_mov_b32_e32 v6, 0
	v_cmp_ne_u64_e32 vcc, 0, v[6:7]
                                        ; implicit-def: $vgpr6_vgpr7
	s_and_saveexec_b64 s[4:5], vcc
	s_xor_b64 s[6:7], exec, s[4:5]
	s_cbranch_execz .LBB39_155
; %bb.154:
	v_cvt_f32_u32_e32 v6, s50
	v_cvt_f32_u32_e32 v7, s51
	s_sub_u32 s4, 0, s50
	s_subb_u32 s5, 0, s51
	v_madmk_f32 v6, v7, 0x4f800000, v6
	v_rcp_f32_e32 v6, v6
	v_mul_f32_e32 v6, 0x5f7ffffc, v6
	v_mul_f32_e32 v7, 0x2f800000, v6
	v_trunc_f32_e32 v7, v7
	v_madmk_f32 v6, v7, 0xcf800000, v6
	v_cvt_u32_f32_e32 v7, v7
	v_cvt_u32_f32_e32 v6, v6
	v_mul_lo_u32 v10, s4, v7
	v_mul_hi_u32 v12, s4, v6
	v_mul_lo_u32 v11, s5, v6
	v_add_u32_e32 v10, v12, v10
	v_mul_lo_u32 v13, s4, v6
	v_add_u32_e32 v10, v10, v11
	v_mul_hi_u32 v12, v6, v13
	v_mul_lo_u32 v14, v6, v10
	v_mul_hi_u32 v11, v6, v10
	v_add_co_u32_e32 v12, vcc, v12, v14
	v_addc_co_u32_e32 v11, vcc, 0, v11, vcc
	v_mul_hi_u32 v15, v7, v13
	v_mul_lo_u32 v13, v7, v13
	v_add_co_u32_e32 v12, vcc, v12, v13
	v_mul_hi_u32 v14, v7, v10
	v_addc_co_u32_e32 v11, vcc, v11, v15, vcc
	v_addc_co_u32_e32 v12, vcc, 0, v14, vcc
	v_mul_lo_u32 v10, v7, v10
	v_add_co_u32_e32 v10, vcc, v11, v10
	v_addc_co_u32_e32 v11, vcc, 0, v12, vcc
	v_add_co_u32_e32 v6, vcc, v6, v10
	v_addc_co_u32_e32 v7, vcc, v7, v11, vcc
	v_mul_lo_u32 v10, s4, v7
	v_mul_hi_u32 v11, s4, v6
	v_add_u32_e32 v10, v11, v10
	v_mul_lo_u32 v11, s5, v6
	v_add_u32_e32 v10, v10, v11
	v_mul_lo_u32 v12, s4, v6
	v_mul_hi_u32 v13, v7, v12
	v_mul_lo_u32 v14, v7, v12
	v_mul_lo_u32 v16, v6, v10
	v_mul_hi_u32 v12, v6, v12
	v_mul_hi_u32 v15, v6, v10
	v_add_co_u32_e32 v12, vcc, v12, v16
	v_addc_co_u32_e32 v15, vcc, 0, v15, vcc
	v_add_co_u32_e32 v12, vcc, v12, v14
	v_mul_hi_u32 v11, v7, v10
	v_addc_co_u32_e32 v12, vcc, v15, v13, vcc
	v_addc_co_u32_e32 v11, vcc, 0, v11, vcc
	v_mul_lo_u32 v10, v7, v10
	v_add_co_u32_e32 v10, vcc, v12, v10
	v_addc_co_u32_e32 v11, vcc, 0, v11, vcc
	v_add_co_u32_e32 v10, vcc, v6, v10
	v_addc_co_u32_e32 v11, vcc, v7, v11, vcc
	v_mad_u64_u32 v[6:7], s[4:5], v8, v11, 0
	v_mul_hi_u32 v12, v8, v10
	v_add_co_u32_e32 v12, vcc, v12, v6
	v_addc_co_u32_e32 v13, vcc, 0, v7, vcc
	v_mad_u64_u32 v[6:7], s[4:5], v9, v11, 0
	v_mad_u64_u32 v[10:11], s[4:5], v9, v10, 0
	v_add_co_u32_e32 v10, vcc, v12, v10
	v_addc_co_u32_e32 v10, vcc, v13, v11, vcc
	v_addc_co_u32_e32 v7, vcc, 0, v7, vcc
	v_add_co_u32_e32 v10, vcc, v10, v6
	v_addc_co_u32_e32 v11, vcc, 0, v7, vcc
	v_mul_lo_u32 v12, s51, v10
	v_mul_lo_u32 v13, s50, v11
	v_mad_u64_u32 v[6:7], s[4:5], s50, v10, 0
	v_add3_u32 v7, v7, v13, v12
	v_sub_u32_e32 v12, v9, v7
	v_mov_b32_e32 v13, s51
	v_sub_co_u32_e32 v6, vcc, v8, v6
	v_subb_co_u32_e64 v8, s[4:5], v12, v13, vcc
	v_subrev_co_u32_e64 v12, s[4:5], s50, v6
	v_subbrev_co_u32_e64 v8, s[4:5], 0, v8, s[4:5]
	v_cmp_le_u32_e64 s[4:5], s51, v8
	v_cndmask_b32_e64 v13, 0, -1, s[4:5]
	v_cmp_le_u32_e64 s[4:5], s50, v12
	v_cndmask_b32_e64 v12, 0, -1, s[4:5]
	v_cmp_eq_u32_e64 s[4:5], s51, v8
	v_cndmask_b32_e64 v8, v13, v12, s[4:5]
	v_add_co_u32_e64 v12, s[4:5], 2, v10
	v_subb_co_u32_e32 v7, vcc, v9, v7, vcc
	v_addc_co_u32_e64 v13, s[4:5], 0, v11, s[4:5]
	v_cmp_le_u32_e32 vcc, s51, v7
	v_add_co_u32_e64 v14, s[4:5], 1, v10
	v_cndmask_b32_e64 v9, 0, -1, vcc
	v_cmp_le_u32_e32 vcc, s50, v6
	v_addc_co_u32_e64 v15, s[4:5], 0, v11, s[4:5]
	v_cndmask_b32_e64 v6, 0, -1, vcc
	v_cmp_eq_u32_e32 vcc, s51, v7
	v_cmp_ne_u32_e64 s[4:5], 0, v8
	v_cndmask_b32_e32 v6, v9, v6, vcc
	v_cndmask_b32_e64 v8, v15, v13, s[4:5]
	v_cmp_ne_u32_e32 vcc, 0, v6
	v_cndmask_b32_e64 v6, v14, v12, s[4:5]
	v_cndmask_b32_e32 v7, v11, v8, vcc
	v_cndmask_b32_e32 v6, v10, v6, vcc
                                        ; implicit-def: $vgpr8
.LBB39_155:
	s_andn2_saveexec_b64 s[4:5], s[6:7]
	s_cbranch_execz .LBB39_157
; %bb.156:
	v_cvt_f32_u32_e32 v6, s50
	s_sub_i32 s6, 0, s50
	v_rcp_iflag_f32_e32 v6, v6
	v_mul_f32_e32 v6, 0x4f7ffffe, v6
	v_cvt_u32_f32_e32 v6, v6
	v_mul_lo_u32 v7, s6, v6
	v_mul_hi_u32 v7, v6, v7
	v_add_u32_e32 v6, v6, v7
	v_mul_hi_u32 v6, v8, v6
	v_mul_lo_u32 v7, v6, s50
	v_sub_u32_e32 v7, v8, v7
	v_add_u32_e32 v9, 1, v6
	v_subrev_u32_e32 v8, s50, v7
	v_cmp_le_u32_e32 vcc, s50, v7
	v_cndmask_b32_e32 v7, v7, v8, vcc
	v_cndmask_b32_e32 v6, v6, v9, vcc
	v_add_u32_e32 v8, 1, v6
	v_cmp_le_u32_e32 vcc, s50, v7
	v_cndmask_b32_e32 v6, v6, v8, vcc
	v_mov_b32_e32 v7, 0
.LBB39_157:
	s_or_b64 exec, exec, s[4:5]
	v_add_co_u32_e32 v10, vcc, 0x300, v28
	v_addc_co_u32_e32 v11, vcc, 0, v1, vcc
	v_or_b32_e32 v9, s51, v11
	v_mov_b32_e32 v8, 0
	v_cmp_ne_u64_e32 vcc, 0, v[8:9]
                                        ; implicit-def: $vgpr8_vgpr9
	s_and_saveexec_b64 s[4:5], vcc
	s_xor_b64 s[6:7], exec, s[4:5]
	s_cbranch_execz .LBB39_159
; %bb.158:
	v_cvt_f32_u32_e32 v8, s50
	v_cvt_f32_u32_e32 v9, s51
	s_sub_u32 s4, 0, s50
	s_subb_u32 s5, 0, s51
	v_madmk_f32 v8, v9, 0x4f800000, v8
	v_rcp_f32_e32 v8, v8
	v_mul_f32_e32 v8, 0x5f7ffffc, v8
	v_mul_f32_e32 v9, 0x2f800000, v8
	v_trunc_f32_e32 v9, v9
	v_madmk_f32 v8, v9, 0xcf800000, v8
	v_cvt_u32_f32_e32 v9, v9
	v_cvt_u32_f32_e32 v8, v8
	v_mul_lo_u32 v12, s4, v9
	v_mul_hi_u32 v14, s4, v8
	v_mul_lo_u32 v13, s5, v8
	v_add_u32_e32 v12, v14, v12
	v_mul_lo_u32 v15, s4, v8
	v_add_u32_e32 v12, v12, v13
	v_mul_hi_u32 v14, v8, v15
	v_mul_lo_u32 v16, v8, v12
	v_mul_hi_u32 v13, v8, v12
	v_add_co_u32_e32 v14, vcc, v14, v16
	v_addc_co_u32_e32 v13, vcc, 0, v13, vcc
	v_mul_hi_u32 v17, v9, v15
	v_mul_lo_u32 v15, v9, v15
	v_add_co_u32_e32 v14, vcc, v14, v15
	v_mul_hi_u32 v16, v9, v12
	v_addc_co_u32_e32 v13, vcc, v13, v17, vcc
	v_addc_co_u32_e32 v14, vcc, 0, v16, vcc
	v_mul_lo_u32 v12, v9, v12
	v_add_co_u32_e32 v12, vcc, v13, v12
	v_addc_co_u32_e32 v13, vcc, 0, v14, vcc
	v_add_co_u32_e32 v8, vcc, v8, v12
	v_addc_co_u32_e32 v9, vcc, v9, v13, vcc
	v_mul_lo_u32 v12, s4, v9
	v_mul_hi_u32 v13, s4, v8
	v_add_u32_e32 v12, v13, v12
	v_mul_lo_u32 v13, s5, v8
	v_add_u32_e32 v12, v12, v13
	v_mul_lo_u32 v14, s4, v8
	v_mul_hi_u32 v15, v9, v14
	v_mul_lo_u32 v16, v9, v14
	v_mul_lo_u32 v18, v8, v12
	v_mul_hi_u32 v14, v8, v14
	v_mul_hi_u32 v17, v8, v12
	v_add_co_u32_e32 v14, vcc, v14, v18
	v_addc_co_u32_e32 v17, vcc, 0, v17, vcc
	v_add_co_u32_e32 v14, vcc, v14, v16
	v_mul_hi_u32 v13, v9, v12
	v_addc_co_u32_e32 v14, vcc, v17, v15, vcc
	v_addc_co_u32_e32 v13, vcc, 0, v13, vcc
	v_mul_lo_u32 v12, v9, v12
	v_add_co_u32_e32 v12, vcc, v14, v12
	v_addc_co_u32_e32 v13, vcc, 0, v13, vcc
	v_add_co_u32_e32 v12, vcc, v8, v12
	v_addc_co_u32_e32 v13, vcc, v9, v13, vcc
	v_mad_u64_u32 v[8:9], s[4:5], v10, v13, 0
	v_mul_hi_u32 v14, v10, v12
	v_add_co_u32_e32 v14, vcc, v14, v8
	v_addc_co_u32_e32 v15, vcc, 0, v9, vcc
	v_mad_u64_u32 v[8:9], s[4:5], v11, v13, 0
	v_mad_u64_u32 v[12:13], s[4:5], v11, v12, 0
	v_add_co_u32_e32 v12, vcc, v14, v12
	v_addc_co_u32_e32 v12, vcc, v15, v13, vcc
	v_addc_co_u32_e32 v9, vcc, 0, v9, vcc
	v_add_co_u32_e32 v12, vcc, v12, v8
	v_addc_co_u32_e32 v13, vcc, 0, v9, vcc
	v_mul_lo_u32 v14, s51, v12
	v_mul_lo_u32 v15, s50, v13
	v_mad_u64_u32 v[8:9], s[4:5], s50, v12, 0
	v_add3_u32 v9, v9, v15, v14
	v_sub_u32_e32 v14, v11, v9
	v_mov_b32_e32 v15, s51
	v_sub_co_u32_e32 v8, vcc, v10, v8
	v_subb_co_u32_e64 v10, s[4:5], v14, v15, vcc
	v_subrev_co_u32_e64 v14, s[4:5], s50, v8
	v_subbrev_co_u32_e64 v10, s[4:5], 0, v10, s[4:5]
	v_cmp_le_u32_e64 s[4:5], s51, v10
	v_cndmask_b32_e64 v15, 0, -1, s[4:5]
	v_cmp_le_u32_e64 s[4:5], s50, v14
	v_cndmask_b32_e64 v14, 0, -1, s[4:5]
	v_cmp_eq_u32_e64 s[4:5], s51, v10
	v_cndmask_b32_e64 v10, v15, v14, s[4:5]
	v_add_co_u32_e64 v14, s[4:5], 2, v12
	v_subb_co_u32_e32 v9, vcc, v11, v9, vcc
	v_addc_co_u32_e64 v15, s[4:5], 0, v13, s[4:5]
	v_cmp_le_u32_e32 vcc, s51, v9
	v_add_co_u32_e64 v16, s[4:5], 1, v12
	v_cndmask_b32_e64 v11, 0, -1, vcc
	v_cmp_le_u32_e32 vcc, s50, v8
	v_addc_co_u32_e64 v17, s[4:5], 0, v13, s[4:5]
	v_cndmask_b32_e64 v8, 0, -1, vcc
	v_cmp_eq_u32_e32 vcc, s51, v9
	v_cmp_ne_u32_e64 s[4:5], 0, v10
	v_cndmask_b32_e32 v8, v11, v8, vcc
	v_cndmask_b32_e64 v10, v17, v15, s[4:5]
	v_cmp_ne_u32_e32 vcc, 0, v8
	v_cndmask_b32_e64 v8, v16, v14, s[4:5]
	v_cndmask_b32_e32 v9, v13, v10, vcc
	v_cndmask_b32_e32 v8, v12, v8, vcc
                                        ; implicit-def: $vgpr10
.LBB39_159:
	s_andn2_saveexec_b64 s[4:5], s[6:7]
	s_cbranch_execz .LBB39_161
; %bb.160:
	v_cvt_f32_u32_e32 v8, s50
	s_sub_i32 s6, 0, s50
	v_rcp_iflag_f32_e32 v8, v8
	v_mul_f32_e32 v8, 0x4f7ffffe, v8
	v_cvt_u32_f32_e32 v8, v8
	v_mul_lo_u32 v9, s6, v8
	v_mul_hi_u32 v9, v8, v9
	v_add_u32_e32 v8, v8, v9
	v_mul_hi_u32 v8, v10, v8
	v_mul_lo_u32 v9, v8, s50
	v_sub_u32_e32 v9, v10, v9
	v_add_u32_e32 v11, 1, v8
	v_subrev_u32_e32 v10, s50, v9
	v_cmp_le_u32_e32 vcc, s50, v9
	v_cndmask_b32_e32 v9, v9, v10, vcc
	v_cndmask_b32_e32 v8, v8, v11, vcc
	v_add_u32_e32 v10, 1, v8
	v_cmp_le_u32_e32 vcc, s50, v9
	v_cndmask_b32_e32 v8, v8, v10, vcc
	v_mov_b32_e32 v9, 0
.LBB39_161:
	s_or_b64 exec, exec, s[4:5]
	v_add_co_u32_e32 v12, vcc, 0x400, v28
	v_addc_co_u32_e32 v13, vcc, 0, v1, vcc
	v_or_b32_e32 v11, s51, v13
	v_mov_b32_e32 v10, 0
	v_cmp_ne_u64_e32 vcc, 0, v[10:11]
                                        ; implicit-def: $vgpr10_vgpr11
	s_and_saveexec_b64 s[4:5], vcc
	s_xor_b64 s[6:7], exec, s[4:5]
	s_cbranch_execz .LBB39_163
; %bb.162:
	v_cvt_f32_u32_e32 v10, s50
	v_cvt_f32_u32_e32 v11, s51
	s_sub_u32 s4, 0, s50
	s_subb_u32 s5, 0, s51
	v_madmk_f32 v10, v11, 0x4f800000, v10
	v_rcp_f32_e32 v10, v10
	v_mul_f32_e32 v10, 0x5f7ffffc, v10
	v_mul_f32_e32 v11, 0x2f800000, v10
	v_trunc_f32_e32 v11, v11
	v_madmk_f32 v10, v11, 0xcf800000, v10
	v_cvt_u32_f32_e32 v11, v11
	v_cvt_u32_f32_e32 v10, v10
	v_mul_lo_u32 v14, s4, v11
	v_mul_hi_u32 v16, s4, v10
	v_mul_lo_u32 v15, s5, v10
	v_add_u32_e32 v14, v16, v14
	v_mul_lo_u32 v17, s4, v10
	v_add_u32_e32 v14, v14, v15
	v_mul_hi_u32 v16, v10, v17
	v_mul_lo_u32 v18, v10, v14
	v_mul_hi_u32 v15, v10, v14
	v_add_co_u32_e32 v16, vcc, v16, v18
	v_addc_co_u32_e32 v15, vcc, 0, v15, vcc
	v_mul_hi_u32 v19, v11, v17
	v_mul_lo_u32 v17, v11, v17
	v_add_co_u32_e32 v16, vcc, v16, v17
	v_mul_hi_u32 v18, v11, v14
	v_addc_co_u32_e32 v15, vcc, v15, v19, vcc
	v_addc_co_u32_e32 v16, vcc, 0, v18, vcc
	v_mul_lo_u32 v14, v11, v14
	v_add_co_u32_e32 v14, vcc, v15, v14
	v_addc_co_u32_e32 v15, vcc, 0, v16, vcc
	v_add_co_u32_e32 v10, vcc, v10, v14
	v_addc_co_u32_e32 v11, vcc, v11, v15, vcc
	v_mul_lo_u32 v14, s4, v11
	v_mul_hi_u32 v15, s4, v10
	v_add_u32_e32 v14, v15, v14
	v_mul_lo_u32 v15, s5, v10
	v_add_u32_e32 v14, v14, v15
	v_mul_lo_u32 v16, s4, v10
	v_mul_hi_u32 v17, v11, v16
	v_mul_lo_u32 v18, v11, v16
	v_mul_lo_u32 v20, v10, v14
	v_mul_hi_u32 v16, v10, v16
	v_mul_hi_u32 v19, v10, v14
	v_add_co_u32_e32 v16, vcc, v16, v20
	v_addc_co_u32_e32 v19, vcc, 0, v19, vcc
	v_add_co_u32_e32 v16, vcc, v16, v18
	v_mul_hi_u32 v15, v11, v14
	v_addc_co_u32_e32 v16, vcc, v19, v17, vcc
	v_addc_co_u32_e32 v15, vcc, 0, v15, vcc
	v_mul_lo_u32 v14, v11, v14
	v_add_co_u32_e32 v14, vcc, v16, v14
	v_addc_co_u32_e32 v15, vcc, 0, v15, vcc
	v_add_co_u32_e32 v14, vcc, v10, v14
	v_addc_co_u32_e32 v15, vcc, v11, v15, vcc
	v_mad_u64_u32 v[10:11], s[4:5], v12, v15, 0
	v_mul_hi_u32 v16, v12, v14
	v_add_co_u32_e32 v16, vcc, v16, v10
	v_addc_co_u32_e32 v17, vcc, 0, v11, vcc
	v_mad_u64_u32 v[10:11], s[4:5], v13, v15, 0
	v_mad_u64_u32 v[14:15], s[4:5], v13, v14, 0
	v_add_co_u32_e32 v14, vcc, v16, v14
	v_addc_co_u32_e32 v14, vcc, v17, v15, vcc
	v_addc_co_u32_e32 v11, vcc, 0, v11, vcc
	v_add_co_u32_e32 v14, vcc, v14, v10
	v_addc_co_u32_e32 v15, vcc, 0, v11, vcc
	v_mul_lo_u32 v16, s51, v14
	v_mul_lo_u32 v17, s50, v15
	v_mad_u64_u32 v[10:11], s[4:5], s50, v14, 0
	v_add3_u32 v11, v11, v17, v16
	v_sub_u32_e32 v16, v13, v11
	v_mov_b32_e32 v17, s51
	v_sub_co_u32_e32 v10, vcc, v12, v10
	v_subb_co_u32_e64 v12, s[4:5], v16, v17, vcc
	v_subrev_co_u32_e64 v16, s[4:5], s50, v10
	v_subbrev_co_u32_e64 v12, s[4:5], 0, v12, s[4:5]
	v_cmp_le_u32_e64 s[4:5], s51, v12
	v_cndmask_b32_e64 v17, 0, -1, s[4:5]
	v_cmp_le_u32_e64 s[4:5], s50, v16
	v_cndmask_b32_e64 v16, 0, -1, s[4:5]
	v_cmp_eq_u32_e64 s[4:5], s51, v12
	v_cndmask_b32_e64 v12, v17, v16, s[4:5]
	v_add_co_u32_e64 v16, s[4:5], 2, v14
	v_subb_co_u32_e32 v11, vcc, v13, v11, vcc
	v_addc_co_u32_e64 v17, s[4:5], 0, v15, s[4:5]
	v_cmp_le_u32_e32 vcc, s51, v11
	v_add_co_u32_e64 v18, s[4:5], 1, v14
	v_cndmask_b32_e64 v13, 0, -1, vcc
	v_cmp_le_u32_e32 vcc, s50, v10
	v_addc_co_u32_e64 v19, s[4:5], 0, v15, s[4:5]
	v_cndmask_b32_e64 v10, 0, -1, vcc
	v_cmp_eq_u32_e32 vcc, s51, v11
	v_cmp_ne_u32_e64 s[4:5], 0, v12
	v_cndmask_b32_e32 v10, v13, v10, vcc
	v_cndmask_b32_e64 v12, v19, v17, s[4:5]
	v_cmp_ne_u32_e32 vcc, 0, v10
	v_cndmask_b32_e64 v10, v18, v16, s[4:5]
	v_cndmask_b32_e32 v11, v15, v12, vcc
	v_cndmask_b32_e32 v10, v14, v10, vcc
                                        ; implicit-def: $vgpr12
.LBB39_163:
	s_andn2_saveexec_b64 s[4:5], s[6:7]
	s_cbranch_execz .LBB39_165
; %bb.164:
	v_cvt_f32_u32_e32 v10, s50
	s_sub_i32 s6, 0, s50
	v_rcp_iflag_f32_e32 v10, v10
	v_mul_f32_e32 v10, 0x4f7ffffe, v10
	v_cvt_u32_f32_e32 v10, v10
	v_mul_lo_u32 v11, s6, v10
	v_mul_hi_u32 v11, v10, v11
	v_add_u32_e32 v10, v10, v11
	v_mul_hi_u32 v10, v12, v10
	v_mul_lo_u32 v11, v10, s50
	v_sub_u32_e32 v11, v12, v11
	v_add_u32_e32 v13, 1, v10
	v_subrev_u32_e32 v12, s50, v11
	v_cmp_le_u32_e32 vcc, s50, v11
	v_cndmask_b32_e32 v11, v11, v12, vcc
	v_cndmask_b32_e32 v10, v10, v13, vcc
	v_add_u32_e32 v12, 1, v10
	v_cmp_le_u32_e32 vcc, s50, v11
	v_cndmask_b32_e32 v10, v10, v12, vcc
	v_mov_b32_e32 v11, 0
.LBB39_165:
	s_or_b64 exec, exec, s[4:5]
	v_add_co_u32_e32 v14, vcc, 0x500, v28
	v_addc_co_u32_e32 v15, vcc, 0, v1, vcc
	v_or_b32_e32 v13, s51, v15
	v_mov_b32_e32 v12, 0
	v_cmp_ne_u64_e32 vcc, 0, v[12:13]
                                        ; implicit-def: $vgpr12_vgpr13
	s_and_saveexec_b64 s[4:5], vcc
	s_xor_b64 s[6:7], exec, s[4:5]
	s_cbranch_execz .LBB39_167
; %bb.166:
	v_cvt_f32_u32_e32 v12, s50
	v_cvt_f32_u32_e32 v13, s51
	s_sub_u32 s4, 0, s50
	s_subb_u32 s5, 0, s51
	v_madmk_f32 v12, v13, 0x4f800000, v12
	v_rcp_f32_e32 v12, v12
	v_mul_f32_e32 v12, 0x5f7ffffc, v12
	v_mul_f32_e32 v13, 0x2f800000, v12
	v_trunc_f32_e32 v13, v13
	v_madmk_f32 v12, v13, 0xcf800000, v12
	v_cvt_u32_f32_e32 v13, v13
	v_cvt_u32_f32_e32 v12, v12
	v_mul_lo_u32 v16, s4, v13
	v_mul_hi_u32 v18, s4, v12
	v_mul_lo_u32 v17, s5, v12
	v_add_u32_e32 v16, v18, v16
	v_mul_lo_u32 v19, s4, v12
	v_add_u32_e32 v16, v16, v17
	v_mul_hi_u32 v18, v12, v19
	v_mul_lo_u32 v20, v12, v16
	v_mul_hi_u32 v17, v12, v16
	v_add_co_u32_e32 v18, vcc, v18, v20
	v_addc_co_u32_e32 v17, vcc, 0, v17, vcc
	v_mul_hi_u32 v21, v13, v19
	v_mul_lo_u32 v19, v13, v19
	v_add_co_u32_e32 v18, vcc, v18, v19
	v_mul_hi_u32 v20, v13, v16
	v_addc_co_u32_e32 v17, vcc, v17, v21, vcc
	v_addc_co_u32_e32 v18, vcc, 0, v20, vcc
	v_mul_lo_u32 v16, v13, v16
	v_add_co_u32_e32 v16, vcc, v17, v16
	v_addc_co_u32_e32 v17, vcc, 0, v18, vcc
	v_add_co_u32_e32 v12, vcc, v12, v16
	v_addc_co_u32_e32 v13, vcc, v13, v17, vcc
	v_mul_lo_u32 v16, s4, v13
	v_mul_hi_u32 v17, s4, v12
	v_add_u32_e32 v16, v17, v16
	v_mul_lo_u32 v17, s5, v12
	v_add_u32_e32 v16, v16, v17
	v_mul_lo_u32 v18, s4, v12
	v_mul_hi_u32 v19, v13, v18
	v_mul_lo_u32 v20, v13, v18
	v_mul_lo_u32 v22, v12, v16
	v_mul_hi_u32 v18, v12, v18
	v_mul_hi_u32 v21, v12, v16
	v_add_co_u32_e32 v18, vcc, v18, v22
	v_addc_co_u32_e32 v21, vcc, 0, v21, vcc
	v_add_co_u32_e32 v18, vcc, v18, v20
	v_mul_hi_u32 v17, v13, v16
	v_addc_co_u32_e32 v18, vcc, v21, v19, vcc
	v_addc_co_u32_e32 v17, vcc, 0, v17, vcc
	v_mul_lo_u32 v16, v13, v16
	v_add_co_u32_e32 v16, vcc, v18, v16
	v_addc_co_u32_e32 v17, vcc, 0, v17, vcc
	v_add_co_u32_e32 v16, vcc, v12, v16
	v_addc_co_u32_e32 v17, vcc, v13, v17, vcc
	v_mad_u64_u32 v[12:13], s[4:5], v14, v17, 0
	v_mul_hi_u32 v18, v14, v16
	v_add_co_u32_e32 v18, vcc, v18, v12
	v_addc_co_u32_e32 v19, vcc, 0, v13, vcc
	v_mad_u64_u32 v[12:13], s[4:5], v15, v17, 0
	v_mad_u64_u32 v[16:17], s[4:5], v15, v16, 0
	v_add_co_u32_e32 v16, vcc, v18, v16
	v_addc_co_u32_e32 v16, vcc, v19, v17, vcc
	v_addc_co_u32_e32 v13, vcc, 0, v13, vcc
	v_add_co_u32_e32 v16, vcc, v16, v12
	v_addc_co_u32_e32 v17, vcc, 0, v13, vcc
	v_mul_lo_u32 v18, s51, v16
	v_mul_lo_u32 v19, s50, v17
	v_mad_u64_u32 v[12:13], s[4:5], s50, v16, 0
	v_add3_u32 v13, v13, v19, v18
	v_sub_u32_e32 v18, v15, v13
	v_mov_b32_e32 v19, s51
	v_sub_co_u32_e32 v12, vcc, v14, v12
	v_subb_co_u32_e64 v14, s[4:5], v18, v19, vcc
	v_subrev_co_u32_e64 v18, s[4:5], s50, v12
	v_subbrev_co_u32_e64 v14, s[4:5], 0, v14, s[4:5]
	v_cmp_le_u32_e64 s[4:5], s51, v14
	v_cndmask_b32_e64 v19, 0, -1, s[4:5]
	v_cmp_le_u32_e64 s[4:5], s50, v18
	v_cndmask_b32_e64 v18, 0, -1, s[4:5]
	v_cmp_eq_u32_e64 s[4:5], s51, v14
	v_cndmask_b32_e64 v14, v19, v18, s[4:5]
	v_add_co_u32_e64 v18, s[4:5], 2, v16
	v_subb_co_u32_e32 v13, vcc, v15, v13, vcc
	v_addc_co_u32_e64 v19, s[4:5], 0, v17, s[4:5]
	v_cmp_le_u32_e32 vcc, s51, v13
	v_add_co_u32_e64 v20, s[4:5], 1, v16
	v_cndmask_b32_e64 v15, 0, -1, vcc
	v_cmp_le_u32_e32 vcc, s50, v12
	v_addc_co_u32_e64 v21, s[4:5], 0, v17, s[4:5]
	v_cndmask_b32_e64 v12, 0, -1, vcc
	v_cmp_eq_u32_e32 vcc, s51, v13
	v_cmp_ne_u32_e64 s[4:5], 0, v14
	v_cndmask_b32_e32 v12, v15, v12, vcc
	v_cndmask_b32_e64 v14, v21, v19, s[4:5]
	v_cmp_ne_u32_e32 vcc, 0, v12
	v_cndmask_b32_e64 v12, v20, v18, s[4:5]
	v_cndmask_b32_e32 v13, v17, v14, vcc
	v_cndmask_b32_e32 v12, v16, v12, vcc
                                        ; implicit-def: $vgpr14
.LBB39_167:
	s_andn2_saveexec_b64 s[4:5], s[6:7]
	s_cbranch_execz .LBB39_169
; %bb.168:
	v_cvt_f32_u32_e32 v12, s50
	s_sub_i32 s6, 0, s50
	v_rcp_iflag_f32_e32 v12, v12
	v_mul_f32_e32 v12, 0x4f7ffffe, v12
	v_cvt_u32_f32_e32 v12, v12
	v_mul_lo_u32 v13, s6, v12
	v_mul_hi_u32 v13, v12, v13
	v_add_u32_e32 v12, v12, v13
	v_mul_hi_u32 v12, v14, v12
	v_mul_lo_u32 v13, v12, s50
	v_sub_u32_e32 v13, v14, v13
	v_add_u32_e32 v15, 1, v12
	v_subrev_u32_e32 v14, s50, v13
	v_cmp_le_u32_e32 vcc, s50, v13
	v_cndmask_b32_e32 v13, v13, v14, vcc
	v_cndmask_b32_e32 v12, v12, v15, vcc
	v_add_u32_e32 v14, 1, v12
	v_cmp_le_u32_e32 vcc, s50, v13
	v_cndmask_b32_e32 v12, v12, v14, vcc
	v_mov_b32_e32 v13, 0
.LBB39_169:
	s_or_b64 exec, exec, s[4:5]
	v_add_co_u32_e32 v16, vcc, 0x600, v28
	v_addc_co_u32_e32 v17, vcc, 0, v1, vcc
	v_or_b32_e32 v15, s51, v17
	v_mov_b32_e32 v14, 0
	v_cmp_ne_u64_e32 vcc, 0, v[14:15]
                                        ; implicit-def: $vgpr14_vgpr15
	s_and_saveexec_b64 s[4:5], vcc
	s_xor_b64 s[6:7], exec, s[4:5]
	s_cbranch_execz .LBB39_171
; %bb.170:
	v_cvt_f32_u32_e32 v14, s50
	v_cvt_f32_u32_e32 v15, s51
	s_sub_u32 s4, 0, s50
	s_subb_u32 s5, 0, s51
	v_madmk_f32 v14, v15, 0x4f800000, v14
	v_rcp_f32_e32 v14, v14
	v_mul_f32_e32 v14, 0x5f7ffffc, v14
	v_mul_f32_e32 v15, 0x2f800000, v14
	v_trunc_f32_e32 v15, v15
	v_madmk_f32 v14, v15, 0xcf800000, v14
	v_cvt_u32_f32_e32 v15, v15
	v_cvt_u32_f32_e32 v14, v14
	v_mul_lo_u32 v18, s4, v15
	v_mul_hi_u32 v20, s4, v14
	v_mul_lo_u32 v19, s5, v14
	v_add_u32_e32 v18, v20, v18
	v_mul_lo_u32 v21, s4, v14
	v_add_u32_e32 v18, v18, v19
	v_mul_hi_u32 v20, v14, v21
	v_mul_lo_u32 v22, v14, v18
	v_mul_hi_u32 v19, v14, v18
	v_add_co_u32_e32 v20, vcc, v20, v22
	v_addc_co_u32_e32 v19, vcc, 0, v19, vcc
	v_mul_hi_u32 v23, v15, v21
	v_mul_lo_u32 v21, v15, v21
	v_add_co_u32_e32 v20, vcc, v20, v21
	v_mul_hi_u32 v22, v15, v18
	v_addc_co_u32_e32 v19, vcc, v19, v23, vcc
	v_addc_co_u32_e32 v20, vcc, 0, v22, vcc
	v_mul_lo_u32 v18, v15, v18
	v_add_co_u32_e32 v18, vcc, v19, v18
	v_addc_co_u32_e32 v19, vcc, 0, v20, vcc
	v_add_co_u32_e32 v14, vcc, v14, v18
	v_addc_co_u32_e32 v15, vcc, v15, v19, vcc
	v_mul_lo_u32 v18, s4, v15
	v_mul_hi_u32 v19, s4, v14
	v_add_u32_e32 v18, v19, v18
	v_mul_lo_u32 v19, s5, v14
	v_add_u32_e32 v18, v18, v19
	v_mul_lo_u32 v20, s4, v14
	v_mul_hi_u32 v21, v15, v20
	v_mul_lo_u32 v22, v15, v20
	v_mul_lo_u32 v24, v14, v18
	v_mul_hi_u32 v20, v14, v20
	v_mul_hi_u32 v23, v14, v18
	v_add_co_u32_e32 v20, vcc, v20, v24
	v_addc_co_u32_e32 v23, vcc, 0, v23, vcc
	v_add_co_u32_e32 v20, vcc, v20, v22
	v_mul_hi_u32 v19, v15, v18
	v_addc_co_u32_e32 v20, vcc, v23, v21, vcc
	v_addc_co_u32_e32 v19, vcc, 0, v19, vcc
	v_mul_lo_u32 v18, v15, v18
	v_add_co_u32_e32 v18, vcc, v20, v18
	v_addc_co_u32_e32 v19, vcc, 0, v19, vcc
	v_add_co_u32_e32 v18, vcc, v14, v18
	v_addc_co_u32_e32 v19, vcc, v15, v19, vcc
	v_mad_u64_u32 v[14:15], s[4:5], v16, v19, 0
	v_mul_hi_u32 v20, v16, v18
	v_add_co_u32_e32 v20, vcc, v20, v14
	v_addc_co_u32_e32 v21, vcc, 0, v15, vcc
	v_mad_u64_u32 v[14:15], s[4:5], v17, v19, 0
	v_mad_u64_u32 v[18:19], s[4:5], v17, v18, 0
	v_add_co_u32_e32 v18, vcc, v20, v18
	v_addc_co_u32_e32 v18, vcc, v21, v19, vcc
	v_addc_co_u32_e32 v15, vcc, 0, v15, vcc
	v_add_co_u32_e32 v18, vcc, v18, v14
	v_addc_co_u32_e32 v19, vcc, 0, v15, vcc
	v_mul_lo_u32 v20, s51, v18
	v_mul_lo_u32 v21, s50, v19
	v_mad_u64_u32 v[14:15], s[4:5], s50, v18, 0
	v_add3_u32 v15, v15, v21, v20
	v_sub_u32_e32 v20, v17, v15
	v_mov_b32_e32 v21, s51
	v_sub_co_u32_e32 v14, vcc, v16, v14
	v_subb_co_u32_e64 v16, s[4:5], v20, v21, vcc
	v_subrev_co_u32_e64 v20, s[4:5], s50, v14
	v_subbrev_co_u32_e64 v16, s[4:5], 0, v16, s[4:5]
	v_cmp_le_u32_e64 s[4:5], s51, v16
	v_cndmask_b32_e64 v21, 0, -1, s[4:5]
	v_cmp_le_u32_e64 s[4:5], s50, v20
	v_cndmask_b32_e64 v20, 0, -1, s[4:5]
	v_cmp_eq_u32_e64 s[4:5], s51, v16
	v_cndmask_b32_e64 v16, v21, v20, s[4:5]
	v_add_co_u32_e64 v20, s[4:5], 2, v18
	v_subb_co_u32_e32 v15, vcc, v17, v15, vcc
	v_addc_co_u32_e64 v21, s[4:5], 0, v19, s[4:5]
	v_cmp_le_u32_e32 vcc, s51, v15
	v_add_co_u32_e64 v22, s[4:5], 1, v18
	v_cndmask_b32_e64 v17, 0, -1, vcc
	v_cmp_le_u32_e32 vcc, s50, v14
	v_addc_co_u32_e64 v23, s[4:5], 0, v19, s[4:5]
	v_cndmask_b32_e64 v14, 0, -1, vcc
	v_cmp_eq_u32_e32 vcc, s51, v15
	v_cmp_ne_u32_e64 s[4:5], 0, v16
	v_cndmask_b32_e32 v14, v17, v14, vcc
	v_cndmask_b32_e64 v16, v23, v21, s[4:5]
	v_cmp_ne_u32_e32 vcc, 0, v14
	v_cndmask_b32_e64 v14, v22, v20, s[4:5]
	v_cndmask_b32_e32 v15, v19, v16, vcc
	v_cndmask_b32_e32 v14, v18, v14, vcc
                                        ; implicit-def: $vgpr16
.LBB39_171:
	s_andn2_saveexec_b64 s[4:5], s[6:7]
	s_cbranch_execz .LBB39_173
; %bb.172:
	v_cvt_f32_u32_e32 v14, s50
	s_sub_i32 s6, 0, s50
	v_rcp_iflag_f32_e32 v14, v14
	v_mul_f32_e32 v14, 0x4f7ffffe, v14
	v_cvt_u32_f32_e32 v14, v14
	v_mul_lo_u32 v15, s6, v14
	v_mul_hi_u32 v15, v14, v15
	v_add_u32_e32 v14, v14, v15
	v_mul_hi_u32 v14, v16, v14
	v_mul_lo_u32 v15, v14, s50
	v_sub_u32_e32 v15, v16, v15
	v_add_u32_e32 v17, 1, v14
	v_subrev_u32_e32 v16, s50, v15
	v_cmp_le_u32_e32 vcc, s50, v15
	v_cndmask_b32_e32 v15, v15, v16, vcc
	v_cndmask_b32_e32 v14, v14, v17, vcc
	v_add_u32_e32 v16, 1, v14
	v_cmp_le_u32_e32 vcc, s50, v15
	v_cndmask_b32_e32 v14, v14, v16, vcc
	v_mov_b32_e32 v15, 0
.LBB39_173:
	s_or_b64 exec, exec, s[4:5]
	v_add_co_u32_e32 v18, vcc, 0x700, v28
	v_addc_co_u32_e32 v19, vcc, 0, v1, vcc
	v_or_b32_e32 v17, s51, v19
	v_mov_b32_e32 v16, 0
	v_cmp_ne_u64_e32 vcc, 0, v[16:17]
                                        ; implicit-def: $vgpr16_vgpr17
	s_and_saveexec_b64 s[4:5], vcc
	s_xor_b64 s[6:7], exec, s[4:5]
	s_cbranch_execz .LBB39_175
; %bb.174:
	v_cvt_f32_u32_e32 v16, s50
	v_cvt_f32_u32_e32 v17, s51
	s_sub_u32 s4, 0, s50
	s_subb_u32 s5, 0, s51
	v_madmk_f32 v16, v17, 0x4f800000, v16
	v_rcp_f32_e32 v16, v16
	v_mul_f32_e32 v16, 0x5f7ffffc, v16
	v_mul_f32_e32 v17, 0x2f800000, v16
	v_trunc_f32_e32 v17, v17
	v_madmk_f32 v16, v17, 0xcf800000, v16
	v_cvt_u32_f32_e32 v17, v17
	v_cvt_u32_f32_e32 v16, v16
	v_mul_lo_u32 v20, s4, v17
	v_mul_hi_u32 v22, s4, v16
	v_mul_lo_u32 v21, s5, v16
	v_add_u32_e32 v20, v22, v20
	v_mul_lo_u32 v23, s4, v16
	v_add_u32_e32 v20, v20, v21
	v_mul_hi_u32 v22, v16, v23
	v_mul_lo_u32 v24, v16, v20
	v_mul_hi_u32 v21, v16, v20
	v_add_co_u32_e32 v22, vcc, v22, v24
	v_addc_co_u32_e32 v21, vcc, 0, v21, vcc
	v_mul_hi_u32 v25, v17, v23
	v_mul_lo_u32 v23, v17, v23
	v_add_co_u32_e32 v22, vcc, v22, v23
	v_mul_hi_u32 v24, v17, v20
	v_addc_co_u32_e32 v21, vcc, v21, v25, vcc
	v_addc_co_u32_e32 v22, vcc, 0, v24, vcc
	v_mul_lo_u32 v20, v17, v20
	v_add_co_u32_e32 v20, vcc, v21, v20
	v_addc_co_u32_e32 v21, vcc, 0, v22, vcc
	v_add_co_u32_e32 v16, vcc, v16, v20
	v_addc_co_u32_e32 v17, vcc, v17, v21, vcc
	v_mul_lo_u32 v20, s4, v17
	v_mul_hi_u32 v21, s4, v16
	v_add_u32_e32 v20, v21, v20
	v_mul_lo_u32 v21, s5, v16
	v_add_u32_e32 v20, v20, v21
	v_mul_lo_u32 v22, s4, v16
	v_mul_hi_u32 v23, v17, v22
	v_mul_lo_u32 v24, v17, v22
	v_mul_lo_u32 v26, v16, v20
	v_mul_hi_u32 v22, v16, v22
	v_mul_hi_u32 v25, v16, v20
	v_add_co_u32_e32 v22, vcc, v22, v26
	v_addc_co_u32_e32 v25, vcc, 0, v25, vcc
	v_add_co_u32_e32 v22, vcc, v22, v24
	v_mul_hi_u32 v21, v17, v20
	v_addc_co_u32_e32 v22, vcc, v25, v23, vcc
	v_addc_co_u32_e32 v21, vcc, 0, v21, vcc
	v_mul_lo_u32 v20, v17, v20
	v_add_co_u32_e32 v20, vcc, v22, v20
	v_addc_co_u32_e32 v21, vcc, 0, v21, vcc
	v_add_co_u32_e32 v20, vcc, v16, v20
	v_addc_co_u32_e32 v21, vcc, v17, v21, vcc
	v_mad_u64_u32 v[16:17], s[4:5], v18, v21, 0
	v_mul_hi_u32 v22, v18, v20
	v_add_co_u32_e32 v22, vcc, v22, v16
	v_addc_co_u32_e32 v23, vcc, 0, v17, vcc
	v_mad_u64_u32 v[16:17], s[4:5], v19, v21, 0
	v_mad_u64_u32 v[20:21], s[4:5], v19, v20, 0
	v_add_co_u32_e32 v20, vcc, v22, v20
	v_addc_co_u32_e32 v20, vcc, v23, v21, vcc
	v_addc_co_u32_e32 v17, vcc, 0, v17, vcc
	v_add_co_u32_e32 v20, vcc, v20, v16
	v_addc_co_u32_e32 v21, vcc, 0, v17, vcc
	v_mul_lo_u32 v22, s51, v20
	v_mul_lo_u32 v23, s50, v21
	v_mad_u64_u32 v[16:17], s[4:5], s50, v20, 0
	v_add3_u32 v17, v17, v23, v22
	v_sub_u32_e32 v22, v19, v17
	v_mov_b32_e32 v23, s51
	v_sub_co_u32_e32 v16, vcc, v18, v16
	v_subb_co_u32_e64 v18, s[4:5], v22, v23, vcc
	v_subrev_co_u32_e64 v22, s[4:5], s50, v16
	v_subbrev_co_u32_e64 v18, s[4:5], 0, v18, s[4:5]
	v_cmp_le_u32_e64 s[4:5], s51, v18
	v_cndmask_b32_e64 v23, 0, -1, s[4:5]
	v_cmp_le_u32_e64 s[4:5], s50, v22
	v_cndmask_b32_e64 v22, 0, -1, s[4:5]
	v_cmp_eq_u32_e64 s[4:5], s51, v18
	v_cndmask_b32_e64 v18, v23, v22, s[4:5]
	v_add_co_u32_e64 v22, s[4:5], 2, v20
	v_subb_co_u32_e32 v17, vcc, v19, v17, vcc
	v_addc_co_u32_e64 v23, s[4:5], 0, v21, s[4:5]
	v_cmp_le_u32_e32 vcc, s51, v17
	v_add_co_u32_e64 v24, s[4:5], 1, v20
	v_cndmask_b32_e64 v19, 0, -1, vcc
	v_cmp_le_u32_e32 vcc, s50, v16
	v_addc_co_u32_e64 v25, s[4:5], 0, v21, s[4:5]
	v_cndmask_b32_e64 v16, 0, -1, vcc
	v_cmp_eq_u32_e32 vcc, s51, v17
	v_cmp_ne_u32_e64 s[4:5], 0, v18
	v_cndmask_b32_e32 v16, v19, v16, vcc
	v_cndmask_b32_e64 v18, v25, v23, s[4:5]
	v_cmp_ne_u32_e32 vcc, 0, v16
	v_cndmask_b32_e64 v16, v24, v22, s[4:5]
	v_cndmask_b32_e32 v17, v21, v18, vcc
	v_cndmask_b32_e32 v16, v20, v16, vcc
                                        ; implicit-def: $vgpr18
.LBB39_175:
	s_andn2_saveexec_b64 s[4:5], s[6:7]
	s_cbranch_execz .LBB39_177
; %bb.176:
	v_cvt_f32_u32_e32 v16, s50
	s_sub_i32 s6, 0, s50
	v_rcp_iflag_f32_e32 v16, v16
	v_mul_f32_e32 v16, 0x4f7ffffe, v16
	v_cvt_u32_f32_e32 v16, v16
	v_mul_lo_u32 v17, s6, v16
	v_mul_hi_u32 v17, v16, v17
	v_add_u32_e32 v16, v16, v17
	v_mul_hi_u32 v16, v18, v16
	v_mul_lo_u32 v17, v16, s50
	v_sub_u32_e32 v17, v18, v17
	v_add_u32_e32 v19, 1, v16
	v_subrev_u32_e32 v18, s50, v17
	v_cmp_le_u32_e32 vcc, s50, v17
	v_cndmask_b32_e32 v17, v17, v18, vcc
	v_cndmask_b32_e32 v16, v16, v19, vcc
	v_add_u32_e32 v18, 1, v16
	v_cmp_le_u32_e32 vcc, s50, v17
	v_cndmask_b32_e32 v16, v16, v18, vcc
	v_mov_b32_e32 v17, 0
.LBB39_177:
	s_or_b64 exec, exec, s[4:5]
	v_add_co_u32_e32 v20, vcc, 0x800, v28
	v_addc_co_u32_e32 v21, vcc, 0, v1, vcc
	v_or_b32_e32 v19, s51, v21
	v_mov_b32_e32 v18, 0
	v_cmp_ne_u64_e32 vcc, 0, v[18:19]
                                        ; implicit-def: $vgpr18_vgpr19
	s_and_saveexec_b64 s[4:5], vcc
	s_xor_b64 s[6:7], exec, s[4:5]
	s_cbranch_execz .LBB39_179
; %bb.178:
	v_cvt_f32_u32_e32 v18, s50
	v_cvt_f32_u32_e32 v19, s51
	s_sub_u32 s4, 0, s50
	s_subb_u32 s5, 0, s51
	v_madmk_f32 v18, v19, 0x4f800000, v18
	v_rcp_f32_e32 v18, v18
	v_mul_f32_e32 v18, 0x5f7ffffc, v18
	v_mul_f32_e32 v19, 0x2f800000, v18
	v_trunc_f32_e32 v19, v19
	v_madmk_f32 v18, v19, 0xcf800000, v18
	v_cvt_u32_f32_e32 v19, v19
	v_cvt_u32_f32_e32 v18, v18
	v_mul_lo_u32 v22, s4, v19
	v_mul_hi_u32 v24, s4, v18
	v_mul_lo_u32 v23, s5, v18
	v_add_u32_e32 v22, v24, v22
	v_mul_lo_u32 v25, s4, v18
	v_add_u32_e32 v22, v22, v23
	v_mul_hi_u32 v24, v18, v25
	v_mul_lo_u32 v26, v18, v22
	v_mul_hi_u32 v23, v18, v22
	v_add_co_u32_e32 v24, vcc, v24, v26
	v_addc_co_u32_e32 v23, vcc, 0, v23, vcc
	v_mul_hi_u32 v27, v19, v25
	v_mul_lo_u32 v25, v19, v25
	v_add_co_u32_e32 v24, vcc, v24, v25
	v_mul_hi_u32 v26, v19, v22
	v_addc_co_u32_e32 v23, vcc, v23, v27, vcc
	v_addc_co_u32_e32 v24, vcc, 0, v26, vcc
	v_mul_lo_u32 v22, v19, v22
	v_add_co_u32_e32 v22, vcc, v23, v22
	v_addc_co_u32_e32 v23, vcc, 0, v24, vcc
	v_add_co_u32_e32 v18, vcc, v18, v22
	v_addc_co_u32_e32 v19, vcc, v19, v23, vcc
	v_mul_lo_u32 v22, s4, v19
	v_mul_hi_u32 v23, s4, v18
	v_add_u32_e32 v22, v23, v22
	v_mul_lo_u32 v23, s5, v18
	v_add_u32_e32 v22, v22, v23
	v_mul_lo_u32 v24, s4, v18
	v_mul_hi_u32 v25, v19, v24
	v_mul_lo_u32 v26, v19, v24
	v_mul_lo_u32 v29, v18, v22
	v_mul_hi_u32 v24, v18, v24
	v_mul_hi_u32 v27, v18, v22
	v_add_co_u32_e32 v24, vcc, v24, v29
	v_addc_co_u32_e32 v27, vcc, 0, v27, vcc
	v_add_co_u32_e32 v24, vcc, v24, v26
	v_mul_hi_u32 v23, v19, v22
	v_addc_co_u32_e32 v24, vcc, v27, v25, vcc
	v_addc_co_u32_e32 v23, vcc, 0, v23, vcc
	v_mul_lo_u32 v22, v19, v22
	v_add_co_u32_e32 v22, vcc, v24, v22
	v_addc_co_u32_e32 v23, vcc, 0, v23, vcc
	v_add_co_u32_e32 v22, vcc, v18, v22
	v_addc_co_u32_e32 v23, vcc, v19, v23, vcc
	v_mad_u64_u32 v[18:19], s[4:5], v20, v23, 0
	v_mul_hi_u32 v24, v20, v22
	v_add_co_u32_e32 v24, vcc, v24, v18
	v_addc_co_u32_e32 v25, vcc, 0, v19, vcc
	v_mad_u64_u32 v[18:19], s[4:5], v21, v23, 0
	v_mad_u64_u32 v[22:23], s[4:5], v21, v22, 0
	v_add_co_u32_e32 v22, vcc, v24, v22
	v_addc_co_u32_e32 v22, vcc, v25, v23, vcc
	v_addc_co_u32_e32 v19, vcc, 0, v19, vcc
	v_add_co_u32_e32 v22, vcc, v22, v18
	v_addc_co_u32_e32 v23, vcc, 0, v19, vcc
	v_mul_lo_u32 v24, s51, v22
	v_mul_lo_u32 v25, s50, v23
	v_mad_u64_u32 v[18:19], s[4:5], s50, v22, 0
	v_add3_u32 v19, v19, v25, v24
	v_sub_u32_e32 v24, v21, v19
	v_mov_b32_e32 v25, s51
	v_sub_co_u32_e32 v18, vcc, v20, v18
	v_subb_co_u32_e64 v20, s[4:5], v24, v25, vcc
	v_subrev_co_u32_e64 v24, s[4:5], s50, v18
	v_subbrev_co_u32_e64 v20, s[4:5], 0, v20, s[4:5]
	v_cmp_le_u32_e64 s[4:5], s51, v20
	v_cndmask_b32_e64 v25, 0, -1, s[4:5]
	v_cmp_le_u32_e64 s[4:5], s50, v24
	v_cndmask_b32_e64 v24, 0, -1, s[4:5]
	v_cmp_eq_u32_e64 s[4:5], s51, v20
	v_cndmask_b32_e64 v20, v25, v24, s[4:5]
	v_add_co_u32_e64 v24, s[4:5], 2, v22
	v_subb_co_u32_e32 v19, vcc, v21, v19, vcc
	v_addc_co_u32_e64 v25, s[4:5], 0, v23, s[4:5]
	v_cmp_le_u32_e32 vcc, s51, v19
	v_add_co_u32_e64 v26, s[4:5], 1, v22
	v_cndmask_b32_e64 v21, 0, -1, vcc
	v_cmp_le_u32_e32 vcc, s50, v18
	v_addc_co_u32_e64 v27, s[4:5], 0, v23, s[4:5]
	v_cndmask_b32_e64 v18, 0, -1, vcc
	v_cmp_eq_u32_e32 vcc, s51, v19
	v_cmp_ne_u32_e64 s[4:5], 0, v20
	v_cndmask_b32_e32 v18, v21, v18, vcc
	v_cndmask_b32_e64 v20, v27, v25, s[4:5]
	v_cmp_ne_u32_e32 vcc, 0, v18
	v_cndmask_b32_e64 v18, v26, v24, s[4:5]
	v_cndmask_b32_e32 v19, v23, v20, vcc
	v_cndmask_b32_e32 v18, v22, v18, vcc
                                        ; implicit-def: $vgpr20
.LBB39_179:
	s_andn2_saveexec_b64 s[4:5], s[6:7]
	s_cbranch_execz .LBB39_181
; %bb.180:
	v_cvt_f32_u32_e32 v18, s50
	s_sub_i32 s6, 0, s50
	v_rcp_iflag_f32_e32 v18, v18
	v_mul_f32_e32 v18, 0x4f7ffffe, v18
	v_cvt_u32_f32_e32 v18, v18
	v_mul_lo_u32 v19, s6, v18
	v_mul_hi_u32 v19, v18, v19
	v_add_u32_e32 v18, v18, v19
	v_mul_hi_u32 v18, v20, v18
	v_mul_lo_u32 v19, v18, s50
	v_sub_u32_e32 v19, v20, v19
	v_add_u32_e32 v21, 1, v18
	v_subrev_u32_e32 v20, s50, v19
	v_cmp_le_u32_e32 vcc, s50, v19
	v_cndmask_b32_e32 v19, v19, v20, vcc
	v_cndmask_b32_e32 v18, v18, v21, vcc
	v_add_u32_e32 v20, 1, v18
	v_cmp_le_u32_e32 vcc, s50, v19
	v_cndmask_b32_e32 v18, v18, v20, vcc
	v_mov_b32_e32 v19, 0
.LBB39_181:
	s_or_b64 exec, exec, s[4:5]
	v_add_co_u32_e32 v22, vcc, 0x900, v28
	v_addc_co_u32_e32 v23, vcc, 0, v1, vcc
	v_or_b32_e32 v21, s51, v23
	v_mov_b32_e32 v20, 0
	v_cmp_ne_u64_e32 vcc, 0, v[20:21]
                                        ; implicit-def: $vgpr20_vgpr21
	s_and_saveexec_b64 s[4:5], vcc
	s_xor_b64 s[6:7], exec, s[4:5]
	s_cbranch_execz .LBB39_183
; %bb.182:
	v_cvt_f32_u32_e32 v20, s50
	v_cvt_f32_u32_e32 v21, s51
	s_sub_u32 s4, 0, s50
	s_subb_u32 s5, 0, s51
	v_madmk_f32 v20, v21, 0x4f800000, v20
	v_rcp_f32_e32 v20, v20
	v_mul_f32_e32 v20, 0x5f7ffffc, v20
	v_mul_f32_e32 v21, 0x2f800000, v20
	v_trunc_f32_e32 v21, v21
	v_madmk_f32 v20, v21, 0xcf800000, v20
	v_cvt_u32_f32_e32 v21, v21
	v_cvt_u32_f32_e32 v20, v20
	v_mul_lo_u32 v24, s4, v21
	v_mul_hi_u32 v26, s4, v20
	v_mul_lo_u32 v25, s5, v20
	v_add_u32_e32 v24, v26, v24
	v_mul_lo_u32 v27, s4, v20
	v_add_u32_e32 v24, v24, v25
	v_mul_hi_u32 v26, v20, v27
	v_mul_lo_u32 v29, v20, v24
	v_mul_hi_u32 v25, v20, v24
	v_add_co_u32_e32 v26, vcc, v26, v29
	v_addc_co_u32_e32 v25, vcc, 0, v25, vcc
	v_mul_hi_u32 v30, v21, v27
	v_mul_lo_u32 v27, v21, v27
	v_add_co_u32_e32 v26, vcc, v26, v27
	v_mul_hi_u32 v29, v21, v24
	v_addc_co_u32_e32 v25, vcc, v25, v30, vcc
	v_addc_co_u32_e32 v26, vcc, 0, v29, vcc
	v_mul_lo_u32 v24, v21, v24
	v_add_co_u32_e32 v24, vcc, v25, v24
	v_addc_co_u32_e32 v25, vcc, 0, v26, vcc
	v_add_co_u32_e32 v20, vcc, v20, v24
	v_addc_co_u32_e32 v21, vcc, v21, v25, vcc
	v_mul_lo_u32 v24, s4, v21
	v_mul_hi_u32 v25, s4, v20
	v_add_u32_e32 v24, v25, v24
	v_mul_lo_u32 v25, s5, v20
	v_add_u32_e32 v24, v24, v25
	v_mul_lo_u32 v26, s4, v20
	v_mul_hi_u32 v27, v21, v26
	v_mul_lo_u32 v29, v21, v26
	v_mul_lo_u32 v31, v20, v24
	v_mul_hi_u32 v26, v20, v26
	v_mul_hi_u32 v30, v20, v24
	v_add_co_u32_e32 v26, vcc, v26, v31
	v_addc_co_u32_e32 v30, vcc, 0, v30, vcc
	v_add_co_u32_e32 v26, vcc, v26, v29
	v_mul_hi_u32 v25, v21, v24
	v_addc_co_u32_e32 v26, vcc, v30, v27, vcc
	v_addc_co_u32_e32 v25, vcc, 0, v25, vcc
	v_mul_lo_u32 v24, v21, v24
	v_add_co_u32_e32 v24, vcc, v26, v24
	v_addc_co_u32_e32 v25, vcc, 0, v25, vcc
	v_add_co_u32_e32 v24, vcc, v20, v24
	v_addc_co_u32_e32 v25, vcc, v21, v25, vcc
	v_mad_u64_u32 v[20:21], s[4:5], v22, v25, 0
	v_mul_hi_u32 v26, v22, v24
	v_add_co_u32_e32 v26, vcc, v26, v20
	v_addc_co_u32_e32 v27, vcc, 0, v21, vcc
	v_mad_u64_u32 v[20:21], s[4:5], v23, v25, 0
	v_mad_u64_u32 v[24:25], s[4:5], v23, v24, 0
	v_add_co_u32_e32 v24, vcc, v26, v24
	v_addc_co_u32_e32 v24, vcc, v27, v25, vcc
	v_addc_co_u32_e32 v21, vcc, 0, v21, vcc
	v_add_co_u32_e32 v24, vcc, v24, v20
	v_addc_co_u32_e32 v25, vcc, 0, v21, vcc
	v_mul_lo_u32 v26, s51, v24
	v_mul_lo_u32 v27, s50, v25
	v_mad_u64_u32 v[20:21], s[4:5], s50, v24, 0
	v_add3_u32 v21, v21, v27, v26
	v_sub_u32_e32 v26, v23, v21
	v_mov_b32_e32 v27, s51
	v_sub_co_u32_e32 v20, vcc, v22, v20
	v_subb_co_u32_e64 v22, s[4:5], v26, v27, vcc
	v_subrev_co_u32_e64 v26, s[4:5], s50, v20
	v_subbrev_co_u32_e64 v22, s[4:5], 0, v22, s[4:5]
	v_cmp_le_u32_e64 s[4:5], s51, v22
	v_cndmask_b32_e64 v27, 0, -1, s[4:5]
	v_cmp_le_u32_e64 s[4:5], s50, v26
	v_cndmask_b32_e64 v26, 0, -1, s[4:5]
	v_cmp_eq_u32_e64 s[4:5], s51, v22
	v_cndmask_b32_e64 v22, v27, v26, s[4:5]
	v_add_co_u32_e64 v26, s[4:5], 2, v24
	v_subb_co_u32_e32 v21, vcc, v23, v21, vcc
	v_addc_co_u32_e64 v27, s[4:5], 0, v25, s[4:5]
	v_cmp_le_u32_e32 vcc, s51, v21
	v_add_co_u32_e64 v29, s[4:5], 1, v24
	v_cndmask_b32_e64 v23, 0, -1, vcc
	v_cmp_le_u32_e32 vcc, s50, v20
	v_addc_co_u32_e64 v30, s[4:5], 0, v25, s[4:5]
	v_cndmask_b32_e64 v20, 0, -1, vcc
	v_cmp_eq_u32_e32 vcc, s51, v21
	v_cmp_ne_u32_e64 s[4:5], 0, v22
	v_cndmask_b32_e32 v20, v23, v20, vcc
	v_cndmask_b32_e64 v22, v30, v27, s[4:5]
	v_cmp_ne_u32_e32 vcc, 0, v20
	v_cndmask_b32_e64 v20, v29, v26, s[4:5]
	v_cndmask_b32_e32 v21, v25, v22, vcc
	v_cndmask_b32_e32 v20, v24, v20, vcc
                                        ; implicit-def: $vgpr22
.LBB39_183:
	s_andn2_saveexec_b64 s[4:5], s[6:7]
	s_cbranch_execz .LBB39_185
; %bb.184:
	v_cvt_f32_u32_e32 v20, s50
	s_sub_i32 s6, 0, s50
	v_rcp_iflag_f32_e32 v20, v20
	v_mul_f32_e32 v20, 0x4f7ffffe, v20
	v_cvt_u32_f32_e32 v20, v20
	v_mul_lo_u32 v21, s6, v20
	v_mul_hi_u32 v21, v20, v21
	v_add_u32_e32 v20, v20, v21
	v_mul_hi_u32 v20, v22, v20
	v_mul_lo_u32 v21, v20, s50
	v_sub_u32_e32 v21, v22, v21
	v_add_u32_e32 v23, 1, v20
	v_subrev_u32_e32 v22, s50, v21
	v_cmp_le_u32_e32 vcc, s50, v21
	v_cndmask_b32_e32 v21, v21, v22, vcc
	v_cndmask_b32_e32 v20, v20, v23, vcc
	v_add_u32_e32 v22, 1, v20
	v_cmp_le_u32_e32 vcc, s50, v21
	v_cndmask_b32_e32 v20, v20, v22, vcc
	v_mov_b32_e32 v21, 0
.LBB39_185:
	s_or_b64 exec, exec, s[4:5]
	v_add_co_u32_e32 v24, vcc, 0xa00, v28
	v_addc_co_u32_e32 v25, vcc, 0, v1, vcc
	v_or_b32_e32 v23, s51, v25
	v_mov_b32_e32 v22, 0
	v_cmp_ne_u64_e32 vcc, 0, v[22:23]
                                        ; implicit-def: $vgpr22_vgpr23
	s_and_saveexec_b64 s[4:5], vcc
	s_xor_b64 s[6:7], exec, s[4:5]
	s_cbranch_execz .LBB39_187
; %bb.186:
	v_cvt_f32_u32_e32 v22, s50
	v_cvt_f32_u32_e32 v23, s51
	s_sub_u32 s4, 0, s50
	s_subb_u32 s5, 0, s51
	v_madmk_f32 v22, v23, 0x4f800000, v22
	v_rcp_f32_e32 v22, v22
	v_mul_f32_e32 v22, 0x5f7ffffc, v22
	v_mul_f32_e32 v23, 0x2f800000, v22
	v_trunc_f32_e32 v23, v23
	v_madmk_f32 v22, v23, 0xcf800000, v22
	v_cvt_u32_f32_e32 v23, v23
	v_cvt_u32_f32_e32 v22, v22
	v_mul_lo_u32 v26, s4, v23
	v_mul_hi_u32 v29, s4, v22
	v_mul_lo_u32 v27, s5, v22
	v_add_u32_e32 v26, v29, v26
	v_mul_lo_u32 v30, s4, v22
	v_add_u32_e32 v26, v26, v27
	v_mul_hi_u32 v29, v22, v30
	v_mul_lo_u32 v31, v22, v26
	v_mul_hi_u32 v27, v22, v26
	v_add_co_u32_e32 v29, vcc, v29, v31
	v_addc_co_u32_e32 v27, vcc, 0, v27, vcc
	v_mul_hi_u32 v32, v23, v30
	v_mul_lo_u32 v30, v23, v30
	v_add_co_u32_e32 v29, vcc, v29, v30
	v_mul_hi_u32 v31, v23, v26
	v_addc_co_u32_e32 v27, vcc, v27, v32, vcc
	v_addc_co_u32_e32 v29, vcc, 0, v31, vcc
	v_mul_lo_u32 v26, v23, v26
	v_add_co_u32_e32 v26, vcc, v27, v26
	v_addc_co_u32_e32 v27, vcc, 0, v29, vcc
	v_add_co_u32_e32 v22, vcc, v22, v26
	v_addc_co_u32_e32 v23, vcc, v23, v27, vcc
	v_mul_lo_u32 v26, s4, v23
	v_mul_hi_u32 v27, s4, v22
	v_add_u32_e32 v26, v27, v26
	v_mul_lo_u32 v27, s5, v22
	v_add_u32_e32 v26, v26, v27
	v_mul_lo_u32 v29, s4, v22
	v_mul_hi_u32 v30, v23, v29
	v_mul_lo_u32 v31, v23, v29
	v_mul_lo_u32 v33, v22, v26
	v_mul_hi_u32 v29, v22, v29
	v_mul_hi_u32 v32, v22, v26
	v_add_co_u32_e32 v29, vcc, v29, v33
	v_addc_co_u32_e32 v32, vcc, 0, v32, vcc
	v_add_co_u32_e32 v29, vcc, v29, v31
	v_mul_hi_u32 v27, v23, v26
	v_addc_co_u32_e32 v29, vcc, v32, v30, vcc
	v_addc_co_u32_e32 v27, vcc, 0, v27, vcc
	v_mul_lo_u32 v26, v23, v26
	v_add_co_u32_e32 v26, vcc, v29, v26
	v_addc_co_u32_e32 v27, vcc, 0, v27, vcc
	v_add_co_u32_e32 v26, vcc, v22, v26
	v_addc_co_u32_e32 v27, vcc, v23, v27, vcc
	v_mad_u64_u32 v[22:23], s[4:5], v24, v27, 0
	v_mul_hi_u32 v29, v24, v26
	v_add_co_u32_e32 v29, vcc, v29, v22
	v_addc_co_u32_e32 v30, vcc, 0, v23, vcc
	v_mad_u64_u32 v[22:23], s[4:5], v25, v27, 0
	v_mad_u64_u32 v[26:27], s[4:5], v25, v26, 0
	v_add_co_u32_e32 v26, vcc, v29, v26
	v_addc_co_u32_e32 v26, vcc, v30, v27, vcc
	v_addc_co_u32_e32 v23, vcc, 0, v23, vcc
	v_add_co_u32_e32 v26, vcc, v26, v22
	v_addc_co_u32_e32 v27, vcc, 0, v23, vcc
	v_mul_lo_u32 v29, s51, v26
	v_mul_lo_u32 v30, s50, v27
	v_mad_u64_u32 v[22:23], s[4:5], s50, v26, 0
	v_add3_u32 v23, v23, v30, v29
	v_sub_u32_e32 v29, v25, v23
	v_mov_b32_e32 v30, s51
	v_sub_co_u32_e32 v22, vcc, v24, v22
	v_subb_co_u32_e64 v24, s[4:5], v29, v30, vcc
	v_subrev_co_u32_e64 v29, s[4:5], s50, v22
	v_subbrev_co_u32_e64 v24, s[4:5], 0, v24, s[4:5]
	v_cmp_le_u32_e64 s[4:5], s51, v24
	v_cndmask_b32_e64 v30, 0, -1, s[4:5]
	v_cmp_le_u32_e64 s[4:5], s50, v29
	v_cndmask_b32_e64 v29, 0, -1, s[4:5]
	v_cmp_eq_u32_e64 s[4:5], s51, v24
	v_cndmask_b32_e64 v24, v30, v29, s[4:5]
	v_add_co_u32_e64 v29, s[4:5], 2, v26
	v_subb_co_u32_e32 v23, vcc, v25, v23, vcc
	v_addc_co_u32_e64 v30, s[4:5], 0, v27, s[4:5]
	v_cmp_le_u32_e32 vcc, s51, v23
	v_add_co_u32_e64 v31, s[4:5], 1, v26
	v_cndmask_b32_e64 v25, 0, -1, vcc
	v_cmp_le_u32_e32 vcc, s50, v22
	v_addc_co_u32_e64 v32, s[4:5], 0, v27, s[4:5]
	v_cndmask_b32_e64 v22, 0, -1, vcc
	v_cmp_eq_u32_e32 vcc, s51, v23
	v_cmp_ne_u32_e64 s[4:5], 0, v24
	v_cndmask_b32_e32 v22, v25, v22, vcc
	v_cndmask_b32_e64 v24, v32, v30, s[4:5]
	v_cmp_ne_u32_e32 vcc, 0, v22
	v_cndmask_b32_e64 v22, v31, v29, s[4:5]
	v_cndmask_b32_e32 v23, v27, v24, vcc
	v_cndmask_b32_e32 v22, v26, v22, vcc
                                        ; implicit-def: $vgpr24
.LBB39_187:
	s_andn2_saveexec_b64 s[4:5], s[6:7]
	s_cbranch_execz .LBB39_189
; %bb.188:
	v_cvt_f32_u32_e32 v22, s50
	s_sub_i32 s6, 0, s50
	v_rcp_iflag_f32_e32 v22, v22
	v_mul_f32_e32 v22, 0x4f7ffffe, v22
	v_cvt_u32_f32_e32 v22, v22
	v_mul_lo_u32 v23, s6, v22
	v_mul_hi_u32 v23, v22, v23
	v_add_u32_e32 v22, v22, v23
	v_mul_hi_u32 v22, v24, v22
	v_mul_lo_u32 v23, v22, s50
	v_sub_u32_e32 v23, v24, v23
	v_add_u32_e32 v25, 1, v22
	v_subrev_u32_e32 v24, s50, v23
	v_cmp_le_u32_e32 vcc, s50, v23
	v_cndmask_b32_e32 v23, v23, v24, vcc
	v_cndmask_b32_e32 v22, v22, v25, vcc
	v_add_u32_e32 v24, 1, v22
	v_cmp_le_u32_e32 vcc, s50, v23
	v_cndmask_b32_e32 v22, v22, v24, vcc
	v_mov_b32_e32 v23, 0
.LBB39_189:
	s_or_b64 exec, exec, s[4:5]
	v_add_co_u32_e32 v26, vcc, 0xb00, v28
	v_addc_co_u32_e32 v27, vcc, 0, v1, vcc
	v_or_b32_e32 v25, s51, v27
	v_mov_b32_e32 v24, 0
	v_cmp_ne_u64_e32 vcc, 0, v[24:25]
                                        ; implicit-def: $vgpr24_vgpr25
	s_and_saveexec_b64 s[4:5], vcc
	s_xor_b64 s[6:7], exec, s[4:5]
	s_cbranch_execz .LBB39_191
; %bb.190:
	v_cvt_f32_u32_e32 v24, s50
	v_cvt_f32_u32_e32 v25, s51
	s_sub_u32 s4, 0, s50
	s_subb_u32 s5, 0, s51
	v_madmk_f32 v24, v25, 0x4f800000, v24
	v_rcp_f32_e32 v24, v24
	v_mul_f32_e32 v24, 0x5f7ffffc, v24
	v_mul_f32_e32 v25, 0x2f800000, v24
	v_trunc_f32_e32 v25, v25
	v_madmk_f32 v24, v25, 0xcf800000, v24
	v_cvt_u32_f32_e32 v25, v25
	v_cvt_u32_f32_e32 v24, v24
	v_mul_lo_u32 v29, s4, v25
	v_mul_hi_u32 v31, s4, v24
	v_mul_lo_u32 v30, s5, v24
	v_add_u32_e32 v29, v31, v29
	v_mul_lo_u32 v32, s4, v24
	v_add_u32_e32 v29, v29, v30
	v_mul_hi_u32 v31, v24, v32
	v_mul_lo_u32 v33, v24, v29
	v_mul_hi_u32 v30, v24, v29
	v_add_co_u32_e32 v31, vcc, v31, v33
	v_addc_co_u32_e32 v30, vcc, 0, v30, vcc
	v_mul_hi_u32 v34, v25, v32
	v_mul_lo_u32 v32, v25, v32
	v_add_co_u32_e32 v31, vcc, v31, v32
	v_mul_hi_u32 v33, v25, v29
	v_addc_co_u32_e32 v30, vcc, v30, v34, vcc
	v_addc_co_u32_e32 v31, vcc, 0, v33, vcc
	v_mul_lo_u32 v29, v25, v29
	v_add_co_u32_e32 v29, vcc, v30, v29
	v_addc_co_u32_e32 v30, vcc, 0, v31, vcc
	v_add_co_u32_e32 v24, vcc, v24, v29
	v_addc_co_u32_e32 v25, vcc, v25, v30, vcc
	v_mul_lo_u32 v29, s4, v25
	v_mul_hi_u32 v30, s4, v24
	v_add_u32_e32 v29, v30, v29
	v_mul_lo_u32 v30, s5, v24
	v_add_u32_e32 v29, v29, v30
	v_mul_lo_u32 v31, s4, v24
	v_mul_hi_u32 v32, v25, v31
	v_mul_lo_u32 v33, v25, v31
	v_mul_lo_u32 v35, v24, v29
	v_mul_hi_u32 v31, v24, v31
	v_mul_hi_u32 v34, v24, v29
	v_add_co_u32_e32 v31, vcc, v31, v35
	v_addc_co_u32_e32 v34, vcc, 0, v34, vcc
	v_add_co_u32_e32 v31, vcc, v31, v33
	v_mul_hi_u32 v30, v25, v29
	v_addc_co_u32_e32 v31, vcc, v34, v32, vcc
	v_addc_co_u32_e32 v30, vcc, 0, v30, vcc
	v_mul_lo_u32 v29, v25, v29
	v_add_co_u32_e32 v29, vcc, v31, v29
	v_addc_co_u32_e32 v30, vcc, 0, v30, vcc
	v_add_co_u32_e32 v29, vcc, v24, v29
	v_addc_co_u32_e32 v30, vcc, v25, v30, vcc
	v_mad_u64_u32 v[24:25], s[4:5], v26, v30, 0
	v_mul_hi_u32 v31, v26, v29
	v_add_co_u32_e32 v32, vcc, v31, v24
	v_addc_co_u32_e32 v33, vcc, 0, v25, vcc
	v_mad_u64_u32 v[24:25], s[4:5], v27, v30, 0
	v_mad_u64_u32 v[30:31], s[4:5], v27, v29, 0
	v_add_co_u32_e32 v29, vcc, v32, v30
	v_addc_co_u32_e32 v29, vcc, v33, v31, vcc
	v_addc_co_u32_e32 v25, vcc, 0, v25, vcc
	v_add_co_u32_e32 v29, vcc, v29, v24
	v_addc_co_u32_e32 v30, vcc, 0, v25, vcc
	v_mul_lo_u32 v31, s51, v29
	v_mul_lo_u32 v32, s50, v30
	v_mad_u64_u32 v[24:25], s[4:5], s50, v29, 0
	v_add3_u32 v25, v25, v32, v31
	v_sub_u32_e32 v31, v27, v25
	v_mov_b32_e32 v32, s51
	v_sub_co_u32_e32 v24, vcc, v26, v24
	v_subb_co_u32_e64 v26, s[4:5], v31, v32, vcc
	v_subrev_co_u32_e64 v31, s[4:5], s50, v24
	v_subbrev_co_u32_e64 v26, s[4:5], 0, v26, s[4:5]
	v_cmp_le_u32_e64 s[4:5], s51, v26
	v_cndmask_b32_e64 v32, 0, -1, s[4:5]
	v_cmp_le_u32_e64 s[4:5], s50, v31
	v_cndmask_b32_e64 v31, 0, -1, s[4:5]
	v_cmp_eq_u32_e64 s[4:5], s51, v26
	v_cndmask_b32_e64 v26, v32, v31, s[4:5]
	v_add_co_u32_e64 v31, s[4:5], 2, v29
	v_subb_co_u32_e32 v25, vcc, v27, v25, vcc
	v_addc_co_u32_e64 v32, s[4:5], 0, v30, s[4:5]
	v_cmp_le_u32_e32 vcc, s51, v25
	v_add_co_u32_e64 v33, s[4:5], 1, v29
	v_cndmask_b32_e64 v27, 0, -1, vcc
	v_cmp_le_u32_e32 vcc, s50, v24
	v_addc_co_u32_e64 v34, s[4:5], 0, v30, s[4:5]
	v_cndmask_b32_e64 v24, 0, -1, vcc
	v_cmp_eq_u32_e32 vcc, s51, v25
	v_cmp_ne_u32_e64 s[4:5], 0, v26
	v_cndmask_b32_e32 v24, v27, v24, vcc
	v_cndmask_b32_e64 v26, v34, v32, s[4:5]
	v_cmp_ne_u32_e32 vcc, 0, v24
	v_cndmask_b32_e64 v24, v33, v31, s[4:5]
	v_cndmask_b32_e32 v25, v30, v26, vcc
	v_cndmask_b32_e32 v24, v29, v24, vcc
                                        ; implicit-def: $vgpr26
.LBB39_191:
	s_andn2_saveexec_b64 s[4:5], s[6:7]
	s_cbranch_execz .LBB39_193
; %bb.192:
	v_cvt_f32_u32_e32 v24, s50
	s_sub_i32 s6, 0, s50
	v_rcp_iflag_f32_e32 v24, v24
	v_mul_f32_e32 v24, 0x4f7ffffe, v24
	v_cvt_u32_f32_e32 v24, v24
	v_mul_lo_u32 v25, s6, v24
	v_mul_hi_u32 v25, v24, v25
	v_add_u32_e32 v24, v24, v25
	v_mul_hi_u32 v24, v26, v24
	v_mul_lo_u32 v25, v24, s50
	v_sub_u32_e32 v25, v26, v25
	v_add_u32_e32 v27, 1, v24
	v_subrev_u32_e32 v26, s50, v25
	v_cmp_le_u32_e32 vcc, s50, v25
	v_cndmask_b32_e32 v25, v25, v26, vcc
	v_cndmask_b32_e32 v24, v24, v27, vcc
	v_add_u32_e32 v26, 1, v24
	v_cmp_le_u32_e32 vcc, s50, v25
	v_cndmask_b32_e32 v24, v24, v26, vcc
	v_mov_b32_e32 v25, 0
.LBB39_193:
	s_or_b64 exec, exec, s[4:5]
	v_add_co_u32_e32 v29, vcc, 0xc00, v28
	v_addc_co_u32_e32 v30, vcc, 0, v1, vcc
	v_or_b32_e32 v27, s51, v30
	v_mov_b32_e32 v26, 0
	v_cmp_ne_u64_e32 vcc, 0, v[26:27]
                                        ; implicit-def: $vgpr26_vgpr27
	s_and_saveexec_b64 s[4:5], vcc
	s_xor_b64 s[6:7], exec, s[4:5]
	s_cbranch_execz .LBB39_195
; %bb.194:
	v_cvt_f32_u32_e32 v26, s50
	v_cvt_f32_u32_e32 v27, s51
	s_sub_u32 s4, 0, s50
	s_subb_u32 s5, 0, s51
	v_madmk_f32 v26, v27, 0x4f800000, v26
	v_rcp_f32_e32 v26, v26
	v_mul_f32_e32 v26, 0x5f7ffffc, v26
	v_mul_f32_e32 v27, 0x2f800000, v26
	v_trunc_f32_e32 v27, v27
	v_madmk_f32 v26, v27, 0xcf800000, v26
	v_cvt_u32_f32_e32 v27, v27
	v_cvt_u32_f32_e32 v26, v26
	v_mul_lo_u32 v31, s4, v27
	v_mul_hi_u32 v33, s4, v26
	v_mul_lo_u32 v32, s5, v26
	v_add_u32_e32 v31, v33, v31
	v_mul_lo_u32 v34, s4, v26
	v_add_u32_e32 v31, v31, v32
	v_mul_hi_u32 v33, v26, v34
	v_mul_lo_u32 v35, v26, v31
	v_mul_hi_u32 v32, v26, v31
	v_add_co_u32_e32 v33, vcc, v33, v35
	v_addc_co_u32_e32 v32, vcc, 0, v32, vcc
	v_mul_hi_u32 v36, v27, v34
	v_mul_lo_u32 v34, v27, v34
	v_add_co_u32_e32 v33, vcc, v33, v34
	v_mul_hi_u32 v35, v27, v31
	v_addc_co_u32_e32 v32, vcc, v32, v36, vcc
	v_addc_co_u32_e32 v33, vcc, 0, v35, vcc
	v_mul_lo_u32 v31, v27, v31
	v_add_co_u32_e32 v31, vcc, v32, v31
	v_addc_co_u32_e32 v32, vcc, 0, v33, vcc
	v_add_co_u32_e32 v26, vcc, v26, v31
	v_addc_co_u32_e32 v27, vcc, v27, v32, vcc
	v_mul_lo_u32 v31, s4, v27
	v_mul_hi_u32 v32, s4, v26
	v_add_u32_e32 v31, v32, v31
	v_mul_lo_u32 v32, s5, v26
	v_add_u32_e32 v31, v31, v32
	v_mul_lo_u32 v33, s4, v26
	v_mul_hi_u32 v34, v27, v33
	v_mul_lo_u32 v35, v27, v33
	v_mul_lo_u32 v37, v26, v31
	v_mul_hi_u32 v33, v26, v33
	v_mul_hi_u32 v36, v26, v31
	v_add_co_u32_e32 v33, vcc, v33, v37
	v_addc_co_u32_e32 v36, vcc, 0, v36, vcc
	v_add_co_u32_e32 v33, vcc, v33, v35
	v_mul_hi_u32 v32, v27, v31
	v_addc_co_u32_e32 v33, vcc, v36, v34, vcc
	v_addc_co_u32_e32 v32, vcc, 0, v32, vcc
	v_mul_lo_u32 v31, v27, v31
	v_add_co_u32_e32 v31, vcc, v33, v31
	v_addc_co_u32_e32 v32, vcc, 0, v32, vcc
	v_add_co_u32_e32 v31, vcc, v26, v31
	v_addc_co_u32_e32 v32, vcc, v27, v32, vcc
	v_mad_u64_u32 v[26:27], s[4:5], v29, v32, 0
	v_mul_hi_u32 v33, v29, v31
	v_add_co_u32_e32 v34, vcc, v33, v26
	v_addc_co_u32_e32 v35, vcc, 0, v27, vcc
	v_mad_u64_u32 v[26:27], s[4:5], v30, v32, 0
	v_mad_u64_u32 v[32:33], s[4:5], v30, v31, 0
	v_add_co_u32_e32 v31, vcc, v34, v32
	v_addc_co_u32_e32 v31, vcc, v35, v33, vcc
	v_addc_co_u32_e32 v27, vcc, 0, v27, vcc
	v_add_co_u32_e32 v31, vcc, v31, v26
	v_addc_co_u32_e32 v32, vcc, 0, v27, vcc
	v_mul_lo_u32 v33, s51, v31
	v_mul_lo_u32 v34, s50, v32
	v_mad_u64_u32 v[26:27], s[4:5], s50, v31, 0
	v_add3_u32 v27, v27, v34, v33
	v_sub_u32_e32 v33, v30, v27
	v_mov_b32_e32 v34, s51
	v_sub_co_u32_e32 v26, vcc, v29, v26
	v_subb_co_u32_e64 v29, s[4:5], v33, v34, vcc
	v_subrev_co_u32_e64 v33, s[4:5], s50, v26
	v_subbrev_co_u32_e64 v29, s[4:5], 0, v29, s[4:5]
	v_cmp_le_u32_e64 s[4:5], s51, v29
	v_cndmask_b32_e64 v34, 0, -1, s[4:5]
	v_cmp_le_u32_e64 s[4:5], s50, v33
	v_cndmask_b32_e64 v33, 0, -1, s[4:5]
	v_cmp_eq_u32_e64 s[4:5], s51, v29
	v_cndmask_b32_e64 v29, v34, v33, s[4:5]
	v_add_co_u32_e64 v33, s[4:5], 2, v31
	v_subb_co_u32_e32 v27, vcc, v30, v27, vcc
	v_addc_co_u32_e64 v34, s[4:5], 0, v32, s[4:5]
	v_cmp_le_u32_e32 vcc, s51, v27
	v_add_co_u32_e64 v35, s[4:5], 1, v31
	v_cndmask_b32_e64 v30, 0, -1, vcc
	v_cmp_le_u32_e32 vcc, s50, v26
	v_addc_co_u32_e64 v36, s[4:5], 0, v32, s[4:5]
	v_cndmask_b32_e64 v26, 0, -1, vcc
	v_cmp_eq_u32_e32 vcc, s51, v27
	v_cmp_ne_u32_e64 s[4:5], 0, v29
	v_cndmask_b32_e32 v26, v30, v26, vcc
	v_cndmask_b32_e64 v29, v36, v34, s[4:5]
	v_cmp_ne_u32_e32 vcc, 0, v26
	v_cndmask_b32_e64 v26, v35, v33, s[4:5]
	v_cndmask_b32_e32 v27, v32, v29, vcc
	v_cndmask_b32_e32 v26, v31, v26, vcc
                                        ; implicit-def: $vgpr29
.LBB39_195:
	s_andn2_saveexec_b64 s[4:5], s[6:7]
	s_cbranch_execz .LBB39_197
; %bb.196:
	v_cvt_f32_u32_e32 v26, s50
	s_sub_i32 s6, 0, s50
	v_rcp_iflag_f32_e32 v26, v26
	v_mul_f32_e32 v26, 0x4f7ffffe, v26
	v_cvt_u32_f32_e32 v26, v26
	v_mul_lo_u32 v27, s6, v26
	v_mul_hi_u32 v27, v26, v27
	v_add_u32_e32 v26, v26, v27
	v_mul_hi_u32 v26, v29, v26
	v_mul_lo_u32 v27, v26, s50
	v_sub_u32_e32 v27, v29, v27
	v_add_u32_e32 v30, 1, v26
	v_subrev_u32_e32 v29, s50, v27
	v_cmp_le_u32_e32 vcc, s50, v27
	v_cndmask_b32_e32 v27, v27, v29, vcc
	v_cndmask_b32_e32 v26, v26, v30, vcc
	v_add_u32_e32 v29, 1, v26
	v_cmp_le_u32_e32 vcc, s50, v27
	v_cndmask_b32_e32 v26, v26, v29, vcc
	v_mov_b32_e32 v27, 0
.LBB39_197:
	s_or_b64 exec, exec, s[4:5]
	v_add_co_u32_e32 v30, vcc, 0xd00, v28
	v_addc_co_u32_e32 v1, vcc, 0, v1, vcc
	v_or_b32_e32 v29, s51, v1
	v_mov_b32_e32 v28, 0
	v_cmp_ne_u64_e32 vcc, 0, v[28:29]
                                        ; implicit-def: $vgpr28_vgpr29
	s_and_saveexec_b64 s[4:5], vcc
	s_xor_b64 s[6:7], exec, s[4:5]
	s_cbranch_execz .LBB39_199
; %bb.198:
	v_cvt_f32_u32_e32 v28, s50
	v_cvt_f32_u32_e32 v29, s51
	s_sub_u32 s4, 0, s50
	s_subb_u32 s5, 0, s51
	v_madmk_f32 v28, v29, 0x4f800000, v28
	v_rcp_f32_e32 v28, v28
	v_mul_f32_e32 v28, 0x5f7ffffc, v28
	v_mul_f32_e32 v29, 0x2f800000, v28
	v_trunc_f32_e32 v29, v29
	v_madmk_f32 v28, v29, 0xcf800000, v28
	v_cvt_u32_f32_e32 v29, v29
	v_cvt_u32_f32_e32 v28, v28
	v_mul_lo_u32 v31, s4, v29
	v_mul_hi_u32 v33, s4, v28
	v_mul_lo_u32 v32, s5, v28
	v_add_u32_e32 v31, v33, v31
	v_mul_lo_u32 v34, s4, v28
	v_add_u32_e32 v31, v31, v32
	v_mul_hi_u32 v33, v28, v34
	v_mul_lo_u32 v35, v28, v31
	v_mul_hi_u32 v32, v28, v31
	v_add_co_u32_e32 v33, vcc, v33, v35
	v_addc_co_u32_e32 v32, vcc, 0, v32, vcc
	v_mul_hi_u32 v36, v29, v34
	v_mul_lo_u32 v34, v29, v34
	v_add_co_u32_e32 v33, vcc, v33, v34
	v_mul_hi_u32 v35, v29, v31
	v_addc_co_u32_e32 v32, vcc, v32, v36, vcc
	v_addc_co_u32_e32 v33, vcc, 0, v35, vcc
	v_mul_lo_u32 v31, v29, v31
	v_add_co_u32_e32 v31, vcc, v32, v31
	v_addc_co_u32_e32 v32, vcc, 0, v33, vcc
	v_add_co_u32_e32 v28, vcc, v28, v31
	v_addc_co_u32_e32 v29, vcc, v29, v32, vcc
	v_mul_lo_u32 v31, s4, v29
	v_mul_hi_u32 v32, s4, v28
	v_add_u32_e32 v31, v32, v31
	v_mul_lo_u32 v32, s5, v28
	v_add_u32_e32 v31, v31, v32
	v_mul_lo_u32 v33, s4, v28
	v_mul_hi_u32 v34, v29, v33
	v_mul_lo_u32 v35, v29, v33
	v_mul_lo_u32 v37, v28, v31
	v_mul_hi_u32 v33, v28, v33
	v_mul_hi_u32 v36, v28, v31
	v_add_co_u32_e32 v33, vcc, v33, v37
	v_addc_co_u32_e32 v36, vcc, 0, v36, vcc
	v_add_co_u32_e32 v33, vcc, v33, v35
	v_mul_hi_u32 v32, v29, v31
	v_addc_co_u32_e32 v33, vcc, v36, v34, vcc
	v_addc_co_u32_e32 v32, vcc, 0, v32, vcc
	v_mul_lo_u32 v31, v29, v31
	v_add_co_u32_e32 v31, vcc, v33, v31
	v_addc_co_u32_e32 v32, vcc, 0, v32, vcc
	v_add_co_u32_e32 v31, vcc, v28, v31
	v_addc_co_u32_e32 v32, vcc, v29, v32, vcc
	v_mad_u64_u32 v[28:29], s[4:5], v30, v32, 0
	v_mul_hi_u32 v33, v30, v31
	v_add_co_u32_e32 v34, vcc, v33, v28
	v_addc_co_u32_e32 v35, vcc, 0, v29, vcc
	v_mad_u64_u32 v[28:29], s[4:5], v1, v32, 0
	v_mad_u64_u32 v[32:33], s[4:5], v1, v31, 0
	v_add_co_u32_e32 v31, vcc, v34, v32
	v_addc_co_u32_e32 v31, vcc, v35, v33, vcc
	v_addc_co_u32_e32 v29, vcc, 0, v29, vcc
	v_add_co_u32_e32 v31, vcc, v31, v28
	v_addc_co_u32_e32 v32, vcc, 0, v29, vcc
	v_mul_lo_u32 v33, s51, v31
	v_mul_lo_u32 v34, s50, v32
	v_mad_u64_u32 v[28:29], s[4:5], s50, v31, 0
	v_add3_u32 v29, v29, v34, v33
	v_sub_u32_e32 v33, v1, v29
	v_mov_b32_e32 v34, s51
	v_sub_co_u32_e32 v28, vcc, v30, v28
	v_subb_co_u32_e64 v30, s[4:5], v33, v34, vcc
	v_subrev_co_u32_e64 v33, s[4:5], s50, v28
	v_subbrev_co_u32_e64 v30, s[4:5], 0, v30, s[4:5]
	v_cmp_le_u32_e64 s[4:5], s51, v30
	v_cndmask_b32_e64 v34, 0, -1, s[4:5]
	v_cmp_le_u32_e64 s[4:5], s50, v33
	v_cndmask_b32_e64 v33, 0, -1, s[4:5]
	v_cmp_eq_u32_e64 s[4:5], s51, v30
	v_cndmask_b32_e64 v30, v34, v33, s[4:5]
	v_add_co_u32_e64 v33, s[4:5], 2, v31
	v_subb_co_u32_e32 v1, vcc, v1, v29, vcc
	v_addc_co_u32_e64 v34, s[4:5], 0, v32, s[4:5]
	v_cmp_le_u32_e32 vcc, s51, v1
	v_add_co_u32_e64 v35, s[4:5], 1, v31
	v_cndmask_b32_e64 v29, 0, -1, vcc
	v_cmp_le_u32_e32 vcc, s50, v28
	v_addc_co_u32_e64 v36, s[4:5], 0, v32, s[4:5]
	v_cndmask_b32_e64 v28, 0, -1, vcc
	v_cmp_eq_u32_e32 vcc, s51, v1
	v_cmp_ne_u32_e64 s[4:5], 0, v30
	v_cndmask_b32_e32 v1, v29, v28, vcc
	v_cndmask_b32_e64 v30, v36, v34, s[4:5]
	v_cmp_ne_u32_e32 vcc, 0, v1
	v_cndmask_b32_e64 v1, v35, v33, s[4:5]
	v_cndmask_b32_e32 v29, v32, v30, vcc
	v_cndmask_b32_e32 v28, v31, v1, vcc
                                        ; implicit-def: $vgpr30
.LBB39_199:
	s_andn2_saveexec_b64 s[4:5], s[6:7]
	s_cbranch_execz .LBB39_201
; %bb.200:
	v_cvt_f32_u32_e32 v1, s50
	s_sub_i32 s6, 0, s50
	v_rcp_iflag_f32_e32 v1, v1
	v_mul_f32_e32 v1, 0x4f7ffffe, v1
	v_cvt_u32_f32_e32 v1, v1
	v_mul_lo_u32 v28, s6, v1
	v_mul_hi_u32 v28, v1, v28
	v_add_u32_e32 v1, v1, v28
	v_mul_hi_u32 v1, v30, v1
	v_mul_lo_u32 v28, v1, s50
	v_sub_u32_e32 v28, v30, v28
	v_add_u32_e32 v29, 1, v1
	v_subrev_u32_e32 v30, s50, v28
	v_cmp_le_u32_e32 vcc, s50, v28
	v_cndmask_b32_e32 v28, v28, v30, vcc
	v_cndmask_b32_e32 v1, v1, v29, vcc
	v_add_u32_e32 v29, 1, v1
	v_cmp_le_u32_e32 vcc, s50, v28
	v_cndmask_b32_e32 v28, v1, v29, vcc
	v_mov_b32_e32 v29, 0
.LBB39_201:
	s_or_b64 exec, exec, s[4:5]
	v_lshlrev_b32_e32 v1, 3, v0
	s_movk_i32 s4, 0x68
	ds_write2st64_b64 v1, v[2:3], v[4:5] offset1:4
	ds_write2st64_b64 v1, v[6:7], v[8:9] offset0:8 offset1:12
	ds_write2st64_b64 v1, v[10:11], v[12:13] offset0:16 offset1:20
	;; [unrolled: 1-line block ×6, first 2 shown]
	v_mad_u32_u24 v1, v0, s4, v1
	s_waitcnt lgkmcnt(0)
	s_barrier
	ds_read_b128 v[14:17], v1
	ds_read_b128 v[2:5], v1 offset:16
	ds_read_b128 v[30:33], v1 offset:32
	;; [unrolled: 1-line block ×6, first 2 shown]
	s_cmp_eq_u64 s[62:63], 0
	s_cbranch_scc1 .LBB39_217
; %bb.202:
	s_andn2_b64 vcc, exec, s[54:55]
	s_cbranch_vccnz .LBB39_218
; %bb.203:
	s_lshl_b64 s[4:5], s[62:63], 3
	s_add_u32 s4, s46, s4
	s_addc_u32 s5, s47, s5
	s_add_u32 s4, s4, -8
	s_addc_u32 s5, s5, -1
	s_load_dwordx2 s[4:5], s[4:5], 0x0
	s_waitcnt lgkmcnt(0)
	v_pk_mov_b32 v[6:7], s[4:5], s[4:5] op_sel:[0,1]
	s_cbranch_execz .LBB39_219
	s_branch .LBB39_222
.LBB39_204:
	v_lshlrev_b32_e32 v3, 2, v0
	v_mov_b32_e32 v5, s67
	v_add_co_u32_e32 v4, vcc, s66, v3
	v_addc_co_u32_e32 v5, vcc, 0, v5, vcc
	flat_load_dword v3, v[4:5]
	s_or_b64 exec, exec, s[4:5]
                                        ; implicit-def: $vgpr4
	s_and_saveexec_b64 s[4:5], s[8:9]
	s_cbranch_execz .LBB39_105
.LBB39_205:
	v_lshlrev_b32_e32 v4, 2, v0
	v_mov_b32_e32 v5, s67
	v_add_co_u32_e32 v4, vcc, s66, v4
	v_addc_co_u32_e32 v5, vcc, 0, v5, vcc
	flat_load_dword v4, v[4:5] offset:1024
	s_or_b64 exec, exec, s[4:5]
                                        ; implicit-def: $vgpr5
	s_and_saveexec_b64 s[4:5], s[10:11]
	s_cbranch_execz .LBB39_106
.LBB39_206:
	v_lshlrev_b32_e32 v5, 2, v0
	v_mov_b32_e32 v7, s67
	v_add_co_u32_e32 v6, vcc, s66, v5
	v_addc_co_u32_e32 v7, vcc, 0, v7, vcc
	flat_load_dword v5, v[6:7] offset:2048
	s_or_b64 exec, exec, s[4:5]
                                        ; implicit-def: $vgpr6
	s_and_saveexec_b64 s[4:5], s[12:13]
	s_cbranch_execz .LBB39_107
.LBB39_207:
	v_lshlrev_b32_e32 v6, 2, v0
	v_mov_b32_e32 v7, s67
	v_add_co_u32_e32 v6, vcc, s66, v6
	v_addc_co_u32_e32 v7, vcc, 0, v7, vcc
	flat_load_dword v6, v[6:7] offset:3072
	s_or_b64 exec, exec, s[4:5]
                                        ; implicit-def: $vgpr7
	s_and_saveexec_b64 s[4:5], s[14:15]
	s_cbranch_execz .LBB39_108
.LBB39_208:
	v_lshlrev_b32_e32 v1, 2, v1
	v_mov_b32_e32 v7, s67
	v_add_co_u32_e32 v8, vcc, s66, v1
	v_addc_co_u32_e32 v9, vcc, 0, v7, vcc
	flat_load_dword v7, v[8:9]
	s_or_b64 exec, exec, s[4:5]
                                        ; implicit-def: $vgpr8
	s_and_saveexec_b64 s[4:5], s[16:17]
	s_cbranch_execz .LBB39_109
.LBB39_209:
	v_lshlrev_b32_e32 v1, 2, v56
	v_mov_b32_e32 v9, s67
	v_add_co_u32_e32 v8, vcc, s66, v1
	v_addc_co_u32_e32 v9, vcc, 0, v9, vcc
	flat_load_dword v8, v[8:9]
	s_or_b64 exec, exec, s[4:5]
                                        ; implicit-def: $vgpr9
	s_and_saveexec_b64 s[4:5], s[18:19]
	s_cbranch_execz .LBB39_110
.LBB39_210:
	v_lshlrev_b32_e32 v1, 2, v57
	v_mov_b32_e32 v9, s67
	v_add_co_u32_e32 v10, vcc, s66, v1
	v_addc_co_u32_e32 v11, vcc, 0, v9, vcc
	flat_load_dword v9, v[10:11]
	s_or_b64 exec, exec, s[4:5]
                                        ; implicit-def: $vgpr10
	s_and_saveexec_b64 s[4:5], s[20:21]
	s_cbranch_execz .LBB39_111
.LBB39_211:
	v_lshlrev_b32_e32 v1, 2, v58
	v_mov_b32_e32 v11, s67
	v_add_co_u32_e32 v10, vcc, s66, v1
	v_addc_co_u32_e32 v11, vcc, 0, v11, vcc
	flat_load_dword v10, v[10:11]
	s_or_b64 exec, exec, s[4:5]
                                        ; implicit-def: $vgpr11
	s_and_saveexec_b64 s[4:5], s[22:23]
	s_cbranch_execz .LBB39_112
.LBB39_212:
	v_lshlrev_b32_e32 v1, 2, v59
	v_mov_b32_e32 v11, s67
	v_add_co_u32_e32 v12, vcc, s66, v1
	v_addc_co_u32_e32 v13, vcc, 0, v11, vcc
	flat_load_dword v11, v[12:13]
	s_or_b64 exec, exec, s[4:5]
                                        ; implicit-def: $vgpr12
	s_and_saveexec_b64 s[4:5], s[24:25]
	s_cbranch_execz .LBB39_113
.LBB39_213:
	v_lshlrev_b32_e32 v1, 2, v60
	v_mov_b32_e32 v13, s67
	v_add_co_u32_e32 v12, vcc, s66, v1
	v_addc_co_u32_e32 v13, vcc, 0, v13, vcc
	flat_load_dword v12, v[12:13]
	s_or_b64 exec, exec, s[4:5]
                                        ; implicit-def: $vgpr13
	s_and_saveexec_b64 s[4:5], s[26:27]
	s_cbranch_execz .LBB39_114
.LBB39_214:
	v_lshlrev_b32_e32 v1, 2, v61
	v_mov_b32_e32 v13, s67
	v_add_co_u32_e32 v14, vcc, s66, v1
	v_addc_co_u32_e32 v15, vcc, 0, v13, vcc
	flat_load_dword v13, v[14:15]
	s_or_b64 exec, exec, s[4:5]
                                        ; implicit-def: $vgpr14
	s_and_saveexec_b64 s[4:5], s[28:29]
	s_cbranch_execz .LBB39_115
.LBB39_215:
	v_lshlrev_b32_e32 v1, 2, v62
	v_mov_b32_e32 v15, s67
	v_add_co_u32_e32 v14, vcc, s66, v1
	v_addc_co_u32_e32 v15, vcc, 0, v15, vcc
	flat_load_dword v14, v[14:15]
	s_or_b64 exec, exec, s[4:5]
                                        ; implicit-def: $vgpr15
	s_and_saveexec_b64 s[4:5], s[30:31]
	s_cbranch_execz .LBB39_116
.LBB39_216:
	v_lshlrev_b32_e32 v1, 2, v63
	v_mov_b32_e32 v15, s67
	v_add_co_u32_e32 v16, vcc, s66, v1
	v_addc_co_u32_e32 v17, vcc, 0, v15, vcc
	flat_load_dword v15, v[16:17]
	s_or_b64 exec, exec, s[4:5]
                                        ; implicit-def: $vgpr16
	s_and_saveexec_b64 s[4:5], s[34:35]
	s_cbranch_execnz .LBB39_117
	s_branch .LBB39_118
.LBB39_217:
                                        ; implicit-def: $vgpr6_vgpr7
	s_branch .LBB39_223
.LBB39_218:
                                        ; implicit-def: $sgpr4_sgpr5
	v_pk_mov_b32 v[6:7], s[4:5], s[4:5] op_sel:[0,1]
.LBB39_219:
	s_add_u32 s6, s52, -1
	s_addc_u32 s7, s53, -1
	s_or_b64 s[4:5], s[6:7], s[50:51]
	s_mov_b32 s4, 0
	s_cmp_lg_u64 s[4:5], 0
	s_mov_b64 s[8:9], -1
	s_cbranch_scc0 .LBB39_311
; %bb.220:
	v_cvt_f32_u32_e32 v6, s50
	v_cvt_f32_u32_e32 v7, s51
	s_sub_u32 s4, 0, s50
	s_subb_u32 s5, 0, s51
	v_madmk_f32 v6, v7, 0x4f800000, v6
	v_rcp_f32_e32 v6, v6
	v_mul_f32_e32 v6, 0x5f7ffffc, v6
	v_mul_f32_e32 v7, 0x2f800000, v6
	v_trunc_f32_e32 v7, v7
	v_madmk_f32 v6, v7, 0xcf800000, v6
	v_cvt_u32_f32_e32 v7, v7
	v_cvt_u32_f32_e32 v6, v6
	v_readfirstlane_b32 s10, v7
	v_readfirstlane_b32 s11, v6
	s_mul_i32 s12, s4, s10
	s_mul_hi_u32 s14, s4, s11
	s_mul_i32 s13, s5, s11
	s_add_i32 s12, s14, s12
	s_add_i32 s12, s12, s13
	s_mul_i32 s15, s4, s11
	s_mul_hi_u32 s13, s11, s12
	s_mul_i32 s14, s11, s12
	s_mul_hi_u32 s11, s11, s15
	s_add_u32 s11, s11, s14
	s_addc_u32 s13, 0, s13
	s_mul_hi_u32 s16, s10, s15
	s_mul_i32 s15, s10, s15
	s_add_u32 s11, s11, s15
	s_mul_hi_u32 s14, s10, s12
	s_addc_u32 s11, s13, s16
	s_addc_u32 s13, s14, 0
	s_mul_i32 s12, s10, s12
	s_add_u32 s11, s11, s12
	s_addc_u32 s12, 0, s13
	v_add_co_u32_e32 v6, vcc, s11, v6
	s_cmp_lg_u64 vcc, 0
	s_addc_u32 s10, s10, s12
	v_readfirstlane_b32 s12, v6
	s_mul_i32 s11, s4, s10
	s_mul_hi_u32 s13, s4, s12
	s_add_i32 s11, s13, s11
	s_mul_i32 s5, s5, s12
	s_add_i32 s11, s11, s5
	s_mul_i32 s4, s4, s12
	s_mul_hi_u32 s13, s10, s4
	s_mul_i32 s14, s10, s4
	s_mul_i32 s16, s12, s11
	s_mul_hi_u32 s4, s12, s4
	s_mul_hi_u32 s15, s12, s11
	s_add_u32 s4, s4, s16
	s_addc_u32 s12, 0, s15
	s_add_u32 s4, s4, s14
	s_mul_hi_u32 s5, s10, s11
	s_addc_u32 s4, s12, s13
	s_addc_u32 s5, s5, 0
	s_mul_i32 s11, s10, s11
	s_add_u32 s4, s4, s11
	s_addc_u32 s5, 0, s5
	v_add_co_u32_e32 v6, vcc, s4, v6
	s_cmp_lg_u64 vcc, 0
	s_addc_u32 s4, s10, s5
	v_readfirstlane_b32 s11, v6
	s_mul_i32 s10, s6, s4
	s_mul_hi_u32 s12, s6, s11
	s_mul_hi_u32 s5, s6, s4
	s_add_u32 s10, s12, s10
	s_addc_u32 s5, 0, s5
	s_mul_hi_u32 s13, s7, s11
	s_mul_i32 s11, s7, s11
	s_add_u32 s10, s10, s11
	s_mul_hi_u32 s12, s7, s4
	s_addc_u32 s5, s5, s13
	s_addc_u32 s10, s12, 0
	s_mul_i32 s4, s7, s4
	s_add_u32 s11, s5, s4
	s_addc_u32 s10, 0, s10
	s_mul_i32 s4, s50, s10
	s_mul_hi_u32 s5, s50, s11
	s_add_i32 s4, s5, s4
	s_mul_i32 s5, s51, s11
	s_add_i32 s12, s4, s5
	s_mul_i32 s5, s50, s11
	v_mov_b32_e32 v6, s5
	s_sub_i32 s4, s7, s12
	v_sub_co_u32_e32 v6, vcc, s6, v6
	s_cmp_lg_u64 vcc, 0
	s_subb_u32 s13, s4, s51
	v_subrev_co_u32_e64 v7, s[4:5], s50, v6
	s_cmp_lg_u64 s[4:5], 0
	s_subb_u32 s13, s13, 0
	s_cmp_ge_u32 s13, s51
	s_cselect_b32 s14, -1, 0
	v_cmp_le_u32_e64 s[4:5], s50, v7
	s_cmp_eq_u32 s13, s51
	v_cndmask_b32_e64 v7, 0, -1, s[4:5]
	v_mov_b32_e32 v8, s14
	s_cselect_b64 s[4:5], -1, 0
	v_cndmask_b32_e64 v7, v8, v7, s[4:5]
	s_add_u32 s4, s11, 1
	s_addc_u32 s13, s10, 0
	s_add_u32 s5, s11, 2
	s_addc_u32 s14, s10, 0
	v_mov_b32_e32 v8, s4
	v_mov_b32_e32 v9, s5
	v_cmp_ne_u32_e64 s[4:5], 0, v7
	v_cndmask_b32_e64 v8, v8, v9, s[4:5]
	v_mov_b32_e32 v7, s13
	v_mov_b32_e32 v9, s14
	s_cmp_lg_u64 vcc, 0
	v_cndmask_b32_e64 v7, v7, v9, s[4:5]
	s_subb_u32 s4, s7, s12
	s_cmp_ge_u32 s4, s51
	s_cselect_b32 s5, -1, 0
	v_cmp_le_u32_e32 vcc, s50, v6
	s_cmp_eq_u32 s4, s51
	v_cndmask_b32_e64 v6, 0, -1, vcc
	v_mov_b32_e32 v9, s5
	s_cselect_b64 vcc, -1, 0
	v_cndmask_b32_e32 v6, v9, v6, vcc
	v_mov_b32_e32 v9, s10
	v_cmp_ne_u32_e32 vcc, 0, v6
	v_mov_b32_e32 v6, s11
	v_cndmask_b32_e32 v7, v9, v7, vcc
	v_cndmask_b32_e32 v6, v6, v8, vcc
	s_cbranch_execnz .LBB39_222
.LBB39_221:
	v_cvt_f32_u32_e32 v6, s50
	s_sub_i32 s4, 0, s50
	s_mov_b32 s5, 0
	v_rcp_iflag_f32_e32 v6, v6
	v_mul_f32_e32 v6, 0x4f7ffffe, v6
	v_cvt_u32_f32_e32 v6, v6
	v_readfirstlane_b32 s7, v6
	s_mul_i32 s4, s4, s7
	s_mul_hi_u32 s4, s7, s4
	s_add_i32 s7, s7, s4
	s_mul_hi_u32 s4, s6, s7
	s_mul_i32 s8, s4, s50
	s_sub_i32 s6, s6, s8
	s_add_i32 s7, s4, 1
	s_sub_i32 s8, s6, s50
	s_cmp_ge_u32 s6, s50
	s_cselect_b32 s4, s7, s4
	s_cselect_b32 s6, s8, s6
	s_add_i32 s7, s4, 1
	s_cmp_ge_u32 s6, s50
	s_cselect_b32 s4, s7, s4
	v_pk_mov_b32 v[6:7], s[4:5], s[4:5] op_sel:[0,1]
.LBB39_222:
	s_cbranch_execnz .LBB39_226
.LBB39_223:
	s_or_b64 s[4:5], s[52:53], s[50:51]
	s_mov_b32 s4, 0
	s_cmp_lg_u64 s[4:5], 0
	s_cbranch_scc0 .LBB39_309
; %bb.224:
	v_cvt_f32_u32_e32 v6, s50
	v_cvt_f32_u32_e32 v7, s51
	s_sub_u32 s4, 0, s50
	s_subb_u32 s5, 0, s51
	v_madmk_f32 v6, v7, 0x4f800000, v6
	v_rcp_f32_e32 v6, v6
	v_mul_f32_e32 v6, 0x5f7ffffc, v6
	v_mul_f32_e32 v7, 0x2f800000, v6
	v_trunc_f32_e32 v7, v7
	v_madmk_f32 v6, v7, 0xcf800000, v6
	v_cvt_u32_f32_e32 v7, v7
	v_cvt_u32_f32_e32 v6, v6
	v_readfirstlane_b32 s8, v7
	v_readfirstlane_b32 s9, v6
	s_mul_i32 s10, s4, s8
	s_mul_hi_u32 s12, s4, s9
	s_mul_i32 s11, s5, s9
	s_add_i32 s10, s12, s10
	s_add_i32 s10, s10, s11
	s_mul_i32 s13, s4, s9
	s_mul_hi_u32 s11, s9, s10
	s_mul_i32 s12, s9, s10
	s_mul_hi_u32 s9, s9, s13
	s_add_u32 s9, s9, s12
	s_addc_u32 s11, 0, s11
	s_mul_hi_u32 s14, s8, s13
	s_mul_i32 s13, s8, s13
	s_add_u32 s9, s9, s13
	s_mul_hi_u32 s12, s8, s10
	s_addc_u32 s9, s11, s14
	s_addc_u32 s11, s12, 0
	s_mul_i32 s10, s8, s10
	s_add_u32 s9, s9, s10
	s_addc_u32 s10, 0, s11
	v_add_co_u32_e32 v6, vcc, s9, v6
	s_cmp_lg_u64 vcc, 0
	s_addc_u32 s8, s8, s10
	v_readfirstlane_b32 s10, v6
	s_mul_i32 s9, s4, s8
	s_mul_hi_u32 s11, s4, s10
	s_add_i32 s9, s11, s9
	s_mul_i32 s5, s5, s10
	s_add_i32 s9, s9, s5
	s_mul_i32 s4, s4, s10
	s_mul_hi_u32 s11, s8, s4
	s_mul_i32 s12, s8, s4
	s_mul_i32 s14, s10, s9
	s_mul_hi_u32 s4, s10, s4
	s_mul_hi_u32 s13, s10, s9
	s_add_u32 s4, s4, s14
	s_addc_u32 s10, 0, s13
	s_add_u32 s4, s4, s12
	s_mul_hi_u32 s5, s8, s9
	s_addc_u32 s4, s10, s11
	s_addc_u32 s5, s5, 0
	s_mul_i32 s9, s8, s9
	s_add_u32 s4, s4, s9
	s_addc_u32 s5, 0, s5
	v_add_co_u32_e32 v6, vcc, s4, v6
	s_cmp_lg_u64 vcc, 0
	s_addc_u32 s4, s8, s5
	v_readfirstlane_b32 s9, v6
	s_mul_i32 s8, s52, s4
	s_mul_hi_u32 s10, s52, s9
	s_mul_hi_u32 s5, s52, s4
	s_add_u32 s8, s10, s8
	s_addc_u32 s5, 0, s5
	s_mul_hi_u32 s11, s53, s9
	s_mul_i32 s9, s53, s9
	s_add_u32 s8, s8, s9
	s_mul_hi_u32 s10, s53, s4
	s_addc_u32 s5, s5, s11
	s_addc_u32 s8, s10, 0
	s_mul_i32 s4, s53, s4
	s_add_u32 s9, s5, s4
	s_addc_u32 s8, 0, s8
	s_mul_i32 s4, s50, s8
	s_mul_hi_u32 s5, s50, s9
	s_add_i32 s4, s5, s4
	s_mul_i32 s5, s51, s9
	s_add_i32 s10, s4, s5
	s_mul_i32 s5, s50, s9
	v_mov_b32_e32 v6, s5
	s_sub_i32 s4, s53, s10
	v_sub_co_u32_e32 v6, vcc, s52, v6
	s_cmp_lg_u64 vcc, 0
	s_subb_u32 s11, s4, s51
	v_subrev_co_u32_e64 v7, s[4:5], s50, v6
	s_cmp_lg_u64 s[4:5], 0
	s_subb_u32 s11, s11, 0
	s_cmp_ge_u32 s11, s51
	s_cselect_b32 s12, -1, 0
	v_cmp_le_u32_e64 s[4:5], s50, v7
	s_cmp_eq_u32 s11, s51
	v_cndmask_b32_e64 v7, 0, -1, s[4:5]
	v_mov_b32_e32 v8, s12
	s_cselect_b64 s[4:5], -1, 0
	v_cndmask_b32_e64 v7, v8, v7, s[4:5]
	s_add_u32 s4, s9, 1
	s_addc_u32 s11, s8, 0
	s_add_u32 s5, s9, 2
	s_addc_u32 s12, s8, 0
	v_mov_b32_e32 v8, s4
	v_mov_b32_e32 v9, s5
	v_cmp_ne_u32_e64 s[4:5], 0, v7
	v_cndmask_b32_e64 v8, v8, v9, s[4:5]
	v_mov_b32_e32 v7, s11
	v_mov_b32_e32 v9, s12
	s_cmp_lg_u64 vcc, 0
	v_cndmask_b32_e64 v7, v7, v9, s[4:5]
	s_subb_u32 s4, s53, s10
	s_cmp_ge_u32 s4, s51
	s_cselect_b32 s5, -1, 0
	v_cmp_le_u32_e32 vcc, s50, v6
	s_cmp_eq_u32 s4, s51
	v_cndmask_b32_e64 v6, 0, -1, vcc
	v_mov_b32_e32 v9, s5
	s_cselect_b64 vcc, -1, 0
	v_cndmask_b32_e32 v6, v9, v6, vcc
	v_mov_b32_e32 v9, s8
	v_cmp_ne_u32_e32 vcc, 0, v6
	v_mov_b32_e32 v6, s9
	v_cndmask_b32_e32 v7, v9, v7, vcc
	v_cndmask_b32_e32 v6, v6, v8, vcc
	s_cbranch_execnz .LBB39_226
.LBB39_225:
	v_cvt_f32_u32_e32 v6, s50
	s_sub_i32 s4, 0, s50
	s_mov_b32 s5, 0
	v_rcp_iflag_f32_e32 v6, v6
	v_mul_f32_e32 v6, 0x4f7ffffe, v6
	v_cvt_u32_f32_e32 v6, v6
	v_readfirstlane_b32 s6, v6
	s_mul_i32 s4, s4, s6
	s_mul_hi_u32 s4, s6, s4
	s_add_i32 s6, s6, s4
	s_mul_hi_u32 s4, s52, s6
	s_mul_i32 s7, s4, s50
	s_sub_i32 s7, s52, s7
	s_add_i32 s6, s4, 1
	s_sub_i32 s8, s7, s50
	s_cmp_ge_u32 s7, s50
	s_cselect_b32 s4, s6, s4
	s_cselect_b32 s7, s8, s7
	s_add_i32 s6, s4, 1
	s_cmp_ge_u32 s7, s50
	s_cselect_b32 s4, s6, s4
	v_pk_mov_b32 v[6:7], s[4:5], s[4:5] op_sel:[0,1]
.LBB39_226:
	s_movk_i32 s4, 0xff98
	v_mad_i32_i24 v1, v0, s4, v1
	s_waitcnt lgkmcnt(0)
	ds_write_b64 v1, v[24:25] offset:28672
	s_waitcnt lgkmcnt(0)
	s_barrier
	s_and_saveexec_b64 s[4:5], s[36:37]
	s_cbranch_execz .LBB39_228
; %bb.227:
	ds_read_b64 v[6:7], v1 offset:28664
.LBB39_228:
	s_or_b64 exec, exec, s[4:5]
	v_lshlrev_b32_e32 v8, 2, v0
	v_mov_b32_e32 v9, s67
	v_add_co_u32_e32 v8, vcc, s66, v8
	v_addc_co_u32_e32 v9, vcc, 0, v9, vcc
	s_movk_i32 s4, 0x1000
	v_add_co_u32_e32 v34, vcc, s4, v8
	v_addc_co_u32_e32 v35, vcc, 0, v9, vcc
	s_movk_i32 s4, 0x2000
	s_waitcnt lgkmcnt(0)
	s_barrier
	flat_load_dword v36, v[8:9]
	flat_load_dword v37, v[8:9] offset:1024
	flat_load_dword v38, v[8:9] offset:2048
	;; [unrolled: 1-line block ×3, first 2 shown]
	flat_load_dword v40, v[34:35]
	flat_load_dword v41, v[34:35] offset:1024
	flat_load_dword v42, v[34:35] offset:2048
	;; [unrolled: 1-line block ×3, first 2 shown]
	v_add_co_u32_e32 v34, vcc, s4, v8
	v_addc_co_u32_e32 v35, vcc, 0, v9, vcc
	s_movk_i32 s4, 0x3000
	v_add_co_u32_e32 v8, vcc, s4, v8
	v_addc_co_u32_e32 v9, vcc, 0, v9, vcc
	flat_load_dword v44, v[34:35]
	flat_load_dword v45, v[34:35] offset:1024
	flat_load_dword v46, v[34:35] offset:2048
	;; [unrolled: 1-line block ×3, first 2 shown]
	flat_load_dword v48, v[8:9]
	flat_load_dword v49, v[8:9] offset:1024
	v_cmp_ne_u64_e32 vcc, v[6:7], v[14:15]
	v_cndmask_b32_e64 v57, 0, 1, vcc
	v_cmp_ne_u64_e32 vcc, v[4:5], v[30:31]
	v_cndmask_b32_e64 v9, 0, 1, vcc
	;; [unrolled: 2-line block ×4, first 2 shown]
	v_cmp_ne_u64_e32 vcc, v[14:15], v[16:17]
	v_lshlrev_b32_e32 v8, 2, v0
	v_cndmask_b32_e64 v3, 0, 1, vcc
	v_cmp_ne_u64_e32 vcc, v[12:13], v[26:27]
	v_cndmask_b32_e64 v17, 0, 1, vcc
	v_cmp_ne_u64_e32 vcc, v[10:11], v[12:13]
	v_sub_u32_e32 v1, v1, v8
	v_cmp_ne_u64_e64 s[16:17], v[22:23], v[24:25]
	v_cndmask_b32_e64 v15, 0, 1, vcc
	v_cmp_ne_u64_e32 vcc, v[32:33], v[10:11]
	v_mad_u32_u24 v24, v0, 52, v1
	v_cndmask_b32_e64 v13, 0, 1, vcc
	v_cmp_ne_u64_e32 vcc, v[30:31], v[32:33]
	v_cndmask_b32_e64 v11, 0, 1, vcc
	v_cmp_ne_u64_e32 vcc, v[20:21], v[22:23]
	;; [unrolled: 2-line block ×5, first 2 shown]
	v_cndmask_b32_e64 v19, 0, 1, vcc
	s_mov_b64 s[18:19], -1
                                        ; implicit-def: $sgpr12_sgpr13
	s_waitcnt vmcnt(0) lgkmcnt(0)
	ds_write2st64_b32 v1, v36, v37 offset1:4
	ds_write2st64_b32 v1, v38, v39 offset0:8 offset1:12
	ds_write2st64_b32 v1, v40, v41 offset0:16 offset1:20
	;; [unrolled: 1-line block ×6, first 2 shown]
	s_waitcnt lgkmcnt(0)
	s_barrier
	ds_read2_b32 v[58:59], v24 offset1:13
	ds_read2_b32 v[30:31], v24 offset0:7 offset1:8
	ds_read2_b32 v[32:33], v24 offset0:5 offset1:6
	;; [unrolled: 1-line block ×4, first 2 shown]
	s_waitcnt lgkmcnt(4)
	v_mov_b32_e32 v56, v58
	s_waitcnt lgkmcnt(3)
	v_mov_b32_e32 v14, v30
	s_waitcnt lgkmcnt(2)
	v_mov_b32_e32 v10, v32
	v_mov_b32_e32 v12, v33
	v_mov_b32_e32 v16, v31
	ds_read2_b32 v[30:31], v24 offset0:11 offset1:12
	ds_read2_b32 v[32:33], v24 offset0:9 offset1:10
	s_waitcnt lgkmcnt(2)
	v_mov_b32_e32 v2, v36
	v_mov_b32_e32 v4, v37
	;; [unrolled: 1-line block ×4, first 2 shown]
	s_waitcnt lgkmcnt(0)
	v_mov_b32_e32 v18, v32
	v_mov_b32_e32 v20, v33
	;; [unrolled: 1-line block ×4, first 2 shown]
.LBB39_229:
	v_pk_mov_b32 v[38:39], s[12:13], s[12:13] op_sel:[0,1]
	s_and_saveexec_b64 s[4:5], s[18:19]
	s_cbranch_execz .LBB39_231
; %bb.230:
	v_cndmask_b32_e64 v39, 0, 1, s[16:17]
	s_waitcnt lgkmcnt(0)
	v_mov_b32_e32 v38, v59
.LBB39_231:
	s_or_b64 exec, exec, s[4:5]
	s_mov_b32 s4, 0
	s_cmp_lg_u32 s59, 0
	v_mbcnt_lo_u32_b32 v49, -1, 0
	v_lshrrev_b32_e32 v1, 6, v0
	v_or_b32_e32 v48, 63, v0
	s_waitcnt lgkmcnt(0)
	s_barrier
	s_cbranch_scc0 .LBB39_260
; %bb.232:
	s_mov_b32 s5, 1
	v_cmp_gt_u64_e64 s[6:7], s[4:5], v[2:3]
	v_cndmask_b32_e64 v27, 0, v56, s[6:7]
	v_add_u32_e32 v27, v27, v2
	v_cmp_gt_u64_e64 s[8:9], s[4:5], v[4:5]
	v_cndmask_b32_e64 v27, 0, v27, s[8:9]
	v_add_u32_e32 v27, v27, v4
	v_cmp_gt_u64_e64 s[10:11], s[4:5], v[6:7]
	v_cndmask_b32_e64 v27, 0, v27, s[10:11]
	v_add_u32_e32 v27, v27, v6
	v_cmp_gt_u64_e64 s[12:13], s[4:5], v[8:9]
	v_cndmask_b32_e64 v27, 0, v27, s[12:13]
	v_add_u32_e32 v27, v27, v8
	v_cmp_gt_u64_e64 s[14:15], s[4:5], v[10:11]
	v_cndmask_b32_e64 v27, 0, v27, s[14:15]
	v_add_u32_e32 v27, v27, v10
	v_cmp_gt_u64_e64 s[16:17], s[4:5], v[12:13]
	v_cndmask_b32_e64 v27, 0, v27, s[16:17]
	v_add_u32_e32 v27, v27, v12
	v_cmp_gt_u64_e64 s[18:19], s[4:5], v[14:15]
	v_cndmask_b32_e64 v27, 0, v27, s[18:19]
	v_add_u32_e32 v27, v27, v14
	v_cmp_gt_u64_e64 s[20:21], s[4:5], v[16:17]
	v_cndmask_b32_e64 v27, 0, v27, s[20:21]
	v_add_u32_e32 v27, v27, v16
	v_cmp_gt_u64_e64 s[22:23], s[4:5], v[18:19]
	v_cndmask_b32_e64 v27, 0, v27, s[22:23]
	v_add_u32_e32 v27, v27, v18
	v_cmp_gt_u64_e64 s[24:25], s[4:5], v[20:21]
	v_cndmask_b32_e64 v27, 0, v27, s[24:25]
	v_add_u32_e32 v27, v27, v20
	v_cmp_gt_u64_e64 s[26:27], s[4:5], v[22:23]
	v_cndmask_b32_e64 v27, 0, v27, s[26:27]
	v_add_u32_e32 v27, v27, v22
	v_cmp_gt_u64_e64 s[28:29], s[4:5], v[24:25]
	v_cndmask_b32_e64 v27, 0, v27, s[28:29]
	v_add_u32_e32 v27, v27, v24
	v_cmp_gt_u64_e64 s[30:31], s[4:5], v[38:39]
	v_cndmask_b32_e64 v27, 0, v27, s[30:31]
	v_add_u32_e32 v28, v27, v38
	v_or3_b32 v27, v39, v25, v23
	v_or3_b32 v27, v27, v21, v19
	;; [unrolled: 1-line block ×6, first 2 shown]
	v_mov_b32_e32 v26, 0
	v_and_b32_e32 v27, 1, v27
	v_cmp_eq_u64_e32 vcc, 0, v[26:27]
	v_cndmask_b32_e32 v26, 1, v57, vcc
	v_mbcnt_hi_u32_b32 v44, -1, v49
	v_mov_b32_dpp v29, v28 row_shr:1 row_mask:0xf bank_mask:0xf
	v_mov_b32_dpp v30, v26 row_shr:1 row_mask:0xf bank_mask:0xf
	v_cmp_eq_u32_e32 vcc, 0, v26
	v_and_b32_e32 v31, 1, v26
	v_and_b32_e32 v27, 15, v44
	v_cndmask_b32_e32 v29, 0, v29, vcc
	v_and_b32_e32 v30, 1, v30
	v_cmp_eq_u32_e32 vcc, 1, v31
	v_cndmask_b32_e64 v30, v30, 1, vcc
	v_cmp_eq_u32_e32 vcc, 0, v27
	v_cndmask_b32_e32 v26, v30, v26, vcc
	v_and_b32_e32 v31, 1, v26
	v_cmp_eq_u32_e64 s[4:5], 1, v31
	v_mov_b32_dpp v30, v26 row_shr:2 row_mask:0xf bank_mask:0xf
	v_and_b32_e32 v30, 1, v30
	v_cndmask_b32_e64 v30, v30, 1, s[4:5]
	v_cmp_lt_u32_e64 s[4:5], 1, v27
	v_cndmask_b32_e64 v29, v29, 0, vcc
	v_cmp_eq_u32_e32 vcc, 0, v26
	v_cndmask_b32_e64 v26, v26, v30, s[4:5]
	v_add_u32_e32 v28, v29, v28
	v_and_b32_e32 v31, 1, v26
	v_mov_b32_dpp v30, v26 row_shr:4 row_mask:0xf bank_mask:0xf
	v_mov_b32_dpp v29, v28 row_shr:2 row_mask:0xf bank_mask:0xf
	s_and_b64 vcc, s[4:5], vcc
	v_and_b32_e32 v30, 1, v30
	v_cmp_eq_u32_e64 s[4:5], 1, v31
	v_cndmask_b32_e32 v29, 0, v29, vcc
	v_cndmask_b32_e64 v30, v30, 1, s[4:5]
	v_cmp_lt_u32_e64 s[4:5], 3, v27
	v_add_u32_e32 v28, v29, v28
	v_cmp_eq_u32_e32 vcc, 0, v26
	v_cndmask_b32_e64 v26, v26, v30, s[4:5]
	v_mov_b32_dpp v29, v28 row_shr:4 row_mask:0xf bank_mask:0xf
	s_and_b64 vcc, s[4:5], vcc
	v_mov_b32_dpp v30, v26 row_shr:8 row_mask:0xf bank_mask:0xf
	v_and_b32_e32 v31, 1, v26
	v_cndmask_b32_e32 v29, 0, v29, vcc
	v_and_b32_e32 v30, 1, v30
	v_cmp_eq_u32_e64 s[4:5], 1, v31
	v_add_u32_e32 v28, v29, v28
	v_cmp_eq_u32_e32 vcc, 0, v26
	v_cndmask_b32_e64 v30, v30, 1, s[4:5]
	v_cmp_lt_u32_e64 s[4:5], 7, v27
	v_mov_b32_dpp v29, v28 row_shr:8 row_mask:0xf bank_mask:0xf
	s_and_b64 vcc, s[4:5], vcc
	v_cndmask_b32_e32 v27, 0, v29, vcc
	v_cndmask_b32_e64 v26, v26, v30, s[4:5]
	v_add_u32_e32 v27, v27, v28
	v_cmp_eq_u32_e32 vcc, 0, v26
	v_mov_b32_dpp v29, v26 row_bcast:15 row_mask:0xf bank_mask:0xf
	v_mov_b32_dpp v28, v27 row_bcast:15 row_mask:0xf bank_mask:0xf
	v_and_b32_e32 v32, 1, v26
	v_and_b32_e32 v31, 16, v44
	v_cndmask_b32_e32 v28, 0, v28, vcc
	v_and_b32_e32 v29, 1, v29
	v_cmp_eq_u32_e32 vcc, 1, v32
	v_bfe_i32 v30, v44, 4, 1
	v_cndmask_b32_e64 v29, v29, 1, vcc
	v_cmp_eq_u32_e32 vcc, 0, v31
	v_and_b32_e32 v28, v30, v28
	v_cndmask_b32_e32 v26, v29, v26, vcc
	v_add_u32_e32 v27, v28, v27
	v_and_b32_e32 v30, 1, v26
	v_mov_b32_dpp v28, v26 row_bcast:31 row_mask:0xf bank_mask:0xf
	v_and_b32_e32 v28, 1, v28
	v_cmp_eq_u32_e64 s[4:5], 1, v30
	v_cmp_eq_u32_e32 vcc, 0, v26
	v_cndmask_b32_e64 v28, v28, 1, s[4:5]
	v_cmp_lt_u32_e64 s[4:5], 31, v44
	v_mov_b32_dpp v29, v27 row_bcast:31 row_mask:0xf bank_mask:0xf
	s_and_b64 vcc, s[4:5], vcc
	v_cndmask_b32_e64 v28, v26, v28, s[4:5]
	v_cndmask_b32_e32 v26, 0, v29, vcc
	v_add_u32_e32 v29, v26, v27
	v_cmp_eq_u32_e32 vcc, v48, v0
	s_and_saveexec_b64 s[4:5], vcc
	s_cbranch_execz .LBB39_234
; %bb.233:
	v_lshlrev_b32_e32 v26, 3, v1
	ds_write_b32 v26, v29
	ds_write_b8 v26, v28 offset:4
.LBB39_234:
	s_or_b64 exec, exec, s[4:5]
	v_cmp_gt_u32_e32 vcc, 4, v0
	s_waitcnt lgkmcnt(0)
	s_barrier
	s_and_saveexec_b64 s[4:5], vcc
	s_cbranch_execz .LBB39_238
; %bb.235:
	v_lshlrev_b32_e32 v30, 3, v0
	ds_read_b64 v[26:27], v30
	v_and_b32_e32 v31, 3, v44
	v_cmp_ne_u32_e32 vcc, 0, v31
	s_waitcnt lgkmcnt(0)
	v_mov_b32_dpp v32, v26 row_shr:1 row_mask:0xf bank_mask:0xf
	v_mov_b32_dpp v34, v27 row_shr:1 row_mask:0xf bank_mask:0xf
	v_mov_b32_e32 v33, v27
	s_and_saveexec_b64 s[34:35], vcc
	s_cbranch_execz .LBB39_237
; %bb.236:
	v_and_b32_e32 v33, 1, v27
	v_and_b32_e32 v34, 1, v34
	v_cmp_eq_u32_e32 vcc, 1, v33
	v_mov_b32_e32 v33, 0
	v_cndmask_b32_e64 v34, v34, 1, vcc
	v_cmp_eq_u16_sdwa vcc, v27, v33 src0_sel:BYTE_0 src1_sel:DWORD
	v_cndmask_b32_e32 v32, 0, v32, vcc
	v_add_u32_e32 v26, v32, v26
	v_and_b32_e32 v32, 0xffff, v34
	s_movk_i32 s40, 0xff00
	v_and_or_b32 v33, v27, s40, v32
	v_mov_b32_e32 v27, v34
.LBB39_237:
	s_or_b64 exec, exec, s[34:35]
	v_mov_b32_dpp v33, v33 row_shr:2 row_mask:0xf bank_mask:0xf
	v_and_b32_e32 v34, 1, v27
	v_and_b32_e32 v33, 1, v33
	v_cmp_eq_u32_e32 vcc, 1, v34
	v_mov_b32_e32 v34, 0
	v_cndmask_b32_e64 v33, v33, 1, vcc
	v_cmp_eq_u16_sdwa s[34:35], v27, v34 src0_sel:BYTE_0 src1_sel:DWORD
	v_cmp_lt_u32_e32 vcc, 1, v31
	v_mov_b32_dpp v32, v26 row_shr:2 row_mask:0xf bank_mask:0xf
	v_cndmask_b32_e32 v27, v27, v33, vcc
	s_and_b64 vcc, vcc, s[34:35]
	v_cndmask_b32_e32 v31, 0, v32, vcc
	v_add_u32_e32 v26, v31, v26
	ds_write_b32 v30, v26
	ds_write_b8 v30, v27 offset:4
.LBB39_238:
	s_or_b64 exec, exec, s[4:5]
	v_cmp_gt_u32_e32 vcc, 64, v0
	v_cmp_lt_u32_e64 s[4:5], 63, v0
	v_mov_b32_e32 v40, 0
	v_mov_b32_e32 v41, 0
	s_waitcnt lgkmcnt(0)
	s_barrier
	s_and_saveexec_b64 s[34:35], s[4:5]
	s_cbranch_execz .LBB39_240
; %bb.239:
	v_lshl_add_u32 v26, v1, 3, -8
	ds_read_b32 v40, v26
	ds_read_u8 v41, v26 offset:4
	v_and_b32_e32 v27, 1, v28
	v_cmp_eq_u32_e64 s[4:5], 0, v28
	s_waitcnt lgkmcnt(1)
	v_cndmask_b32_e64 v26, 0, v40, s[4:5]
	v_cmp_eq_u32_e64 s[4:5], 1, v27
	v_add_u32_e32 v29, v26, v29
	s_waitcnt lgkmcnt(0)
	v_cndmask_b32_e64 v28, v41, 1, s[4:5]
.LBB39_240:
	s_or_b64 exec, exec, s[34:35]
	v_add_u32_e32 v26, -1, v44
	v_and_b32_e32 v27, 64, v44
	v_cmp_lt_i32_e64 s[4:5], v26, v27
	v_cndmask_b32_e64 v26, v26, v44, s[4:5]
	v_lshlrev_b32_e32 v26, 2, v26
	ds_bpermute_b32 v42, v26, v29
	ds_bpermute_b32 v43, v26, v28
	v_cmp_eq_u32_e64 s[34:35], 0, v44
	s_and_saveexec_b64 s[40:41], vcc
	s_cbranch_execz .LBB39_259
; %bb.241:
	v_mov_b32_e32 v29, 0
	ds_read_b64 v[26:27], v29 offset:24
	s_waitcnt lgkmcnt(0)
	v_readfirstlane_b32 s52, v27
	s_and_saveexec_b64 s[4:5], s[34:35]
	s_cbranch_execz .LBB39_243
; %bb.242:
	s_add_i32 s46, s59, 64
	s_mov_b32 s47, 0
	s_lshl_b64 s[50:51], s[46:47], 4
	s_add_u32 s50, s56, s50
	s_addc_u32 s51, s57, s51
	s_and_b32 s55, s52, 0xff000000
	s_mov_b32 s54, s47
	s_and_b32 s63, s52, 0xff0000
	s_mov_b32 s62, s47
	s_or_b64 s[54:55], s[62:63], s[54:55]
	s_and_b32 s63, s52, 0xff00
	s_or_b64 s[54:55], s[54:55], s[62:63]
	s_and_b32 s63, s52, 0xff
	s_or_b64 s[46:47], s[54:55], s[62:63]
	v_mov_b32_e32 v27, s47
	v_mov_b32_e32 v28, 1
	v_pk_mov_b32 v[30:31], s[50:51], s[50:51] op_sel:[0,1]
	;;#ASMSTART
	global_store_dwordx4 v[30:31], v[26:29] off	
s_waitcnt vmcnt(0)
	;;#ASMEND
.LBB39_243:
	s_or_b64 exec, exec, s[4:5]
	v_xad_u32 v34, v44, -1, s59
	v_add_u32_e32 v28, 64, v34
	v_lshlrev_b64 v[30:31], 4, v[28:29]
	v_mov_b32_e32 v27, s57
	v_add_co_u32_e32 v36, vcc, s56, v30
	v_addc_co_u32_e32 v37, vcc, v27, v31, vcc
	;;#ASMSTART
	global_load_dwordx4 v[30:33], v[36:37] off glc	
s_waitcnt vmcnt(0)
	;;#ASMEND
	v_and_b32_e32 v27, 0xff0000, v30
	v_or_b32_sdwa v27, v30, v27 dst_sel:DWORD dst_unused:UNUSED_PAD src0_sel:WORD_0 src1_sel:DWORD
	v_and_b32_e32 v28, 0xff000000, v30
	v_and_b32_e32 v30, 0xff, v31
	v_or3_b32 v31, 0, 0, v30
	v_or3_b32 v30, v27, v28, 0
	v_cmp_eq_u16_sdwa s[46:47], v32, v29 src0_sel:BYTE_0 src1_sel:DWORD
	s_and_saveexec_b64 s[4:5], s[46:47]
	s_cbranch_execz .LBB39_247
; %bb.244:
	s_mov_b64 s[46:47], 0
	v_mov_b32_e32 v27, 0
.LBB39_245:                             ; =>This Inner Loop Header: Depth=1
	;;#ASMSTART
	global_load_dwordx4 v[30:33], v[36:37] off glc	
s_waitcnt vmcnt(0)
	;;#ASMEND
	v_cmp_ne_u16_sdwa s[50:51], v32, v27 src0_sel:BYTE_0 src1_sel:DWORD
	s_or_b64 s[46:47], s[50:51], s[46:47]
	s_andn2_b64 exec, exec, s[46:47]
	s_cbranch_execnz .LBB39_245
; %bb.246:
	s_or_b64 exec, exec, s[46:47]
	v_and_b32_e32 v31, 0xff, v31
.LBB39_247:
	s_or_b64 exec, exec, s[4:5]
	v_mov_b32_e32 v27, 2
	v_cmp_eq_u16_sdwa s[4:5], v32, v27 src0_sel:BYTE_0 src1_sel:DWORD
	v_lshlrev_b64 v[28:29], v44, -1
	v_and_b32_e32 v33, s5, v29
	v_or_b32_e32 v33, 0x80000000, v33
	v_and_b32_e32 v35, s4, v28
	v_ffbl_b32_e32 v33, v33
	v_and_b32_e32 v45, 63, v44
	v_add_u32_e32 v33, 32, v33
	v_ffbl_b32_e32 v35, v35
	v_cmp_ne_u32_e32 vcc, 63, v45
	v_min_u32_e32 v33, v35, v33
	v_addc_co_u32_e32 v35, vcc, 0, v44, vcc
	v_lshlrev_b32_e32 v46, 2, v35
	ds_bpermute_b32 v35, v46, v31
	ds_bpermute_b32 v36, v46, v30
	s_mov_b32 s46, 0
	v_and_b32_e32 v37, 1, v31
	s_mov_b32 s47, 1
	s_waitcnt lgkmcnt(1)
	v_and_b32_e32 v35, 1, v35
	v_cmp_eq_u32_e32 vcc, 1, v37
	v_cndmask_b32_e64 v35, v35, 1, vcc
	v_cmp_gt_u64_e32 vcc, s[46:47], v[30:31]
	v_cmp_lt_u32_e64 s[4:5], v45, v33
	s_and_b64 vcc, s[4:5], vcc
	v_and_b32_e32 v37, 0xffff, v35
	v_cndmask_b32_e64 v51, v31, v35, s[4:5]
	s_waitcnt lgkmcnt(0)
	v_cndmask_b32_e32 v35, 0, v36, vcc
	v_cmp_gt_u32_e32 vcc, 62, v45
	v_cndmask_b32_e64 v36, 0, 1, vcc
	v_lshlrev_b32_e32 v36, 1, v36
	v_cndmask_b32_e64 v31, v31, v37, s[4:5]
	v_add_lshl_u32 v47, v36, v44, 2
	ds_bpermute_b32 v36, v47, v31
	v_add_u32_e32 v30, v35, v30
	ds_bpermute_b32 v37, v47, v30
	v_and_b32_e32 v35, 1, v51
	v_cmp_eq_u32_e32 vcc, 1, v35
	s_waitcnt lgkmcnt(1)
	v_and_b32_e32 v36, 1, v36
	v_mov_b32_e32 v35, 0
	v_add_u32_e32 v50, 2, v45
	v_cndmask_b32_e64 v36, v36, 1, vcc
	v_cmp_eq_u16_sdwa vcc, v51, v35 src0_sel:BYTE_0 src1_sel:DWORD
	v_and_b32_e32 v52, 0xffff, v36
	s_waitcnt lgkmcnt(0)
	v_cndmask_b32_e32 v37, 0, v37, vcc
	v_cmp_gt_u32_e32 vcc, v50, v33
	v_cndmask_b32_e32 v36, v36, v51, vcc
	v_cndmask_b32_e64 v37, v37, 0, vcc
	v_cndmask_b32_e32 v31, v52, v31, vcc
	v_cmp_gt_u32_e32 vcc, 60, v45
	v_cndmask_b32_e64 v51, 0, 1, vcc
	v_lshlrev_b32_e32 v51, 2, v51
	v_add_lshl_u32 v51, v51, v44, 2
	ds_bpermute_b32 v53, v51, v31
	v_add_u32_e32 v30, v37, v30
	ds_bpermute_b32 v37, v51, v30
	v_and_b32_e32 v54, 1, v36
	v_cmp_eq_u32_e32 vcc, 1, v54
	s_waitcnt lgkmcnt(1)
	v_and_b32_e32 v53, 1, v53
	v_add_u32_e32 v52, 4, v45
	v_cndmask_b32_e64 v53, v53, 1, vcc
	v_cmp_eq_u16_sdwa vcc, v36, v35 src0_sel:BYTE_0 src1_sel:DWORD
	v_and_b32_e32 v54, 0xffff, v53
	s_waitcnt lgkmcnt(0)
	v_cndmask_b32_e32 v37, 0, v37, vcc
	v_cmp_gt_u32_e32 vcc, v52, v33
	v_cndmask_b32_e32 v36, v53, v36, vcc
	v_cndmask_b32_e64 v37, v37, 0, vcc
	v_cndmask_b32_e32 v31, v54, v31, vcc
	v_cmp_gt_u32_e32 vcc, 56, v45
	v_cndmask_b32_e64 v53, 0, 1, vcc
	v_lshlrev_b32_e32 v53, 3, v53
	v_add_lshl_u32 v53, v53, v44, 2
	ds_bpermute_b32 v55, v53, v31
	v_add_u32_e32 v30, v37, v30
	ds_bpermute_b32 v37, v53, v30
	v_and_b32_e32 v58, 1, v36
	v_cmp_eq_u32_e32 vcc, 1, v58
	s_waitcnt lgkmcnt(1)
	v_and_b32_e32 v55, 1, v55
	;; [unrolled: 21-line block ×4, first 2 shown]
	v_add_u32_e32 v61, 32, v45
	v_cndmask_b32_e64 v31, v31, 1, vcc
	v_cmp_eq_u16_sdwa vcc, v36, v35 src0_sel:BYTE_0 src1_sel:DWORD
	s_waitcnt lgkmcnt(0)
	v_cndmask_b32_e32 v37, 0, v37, vcc
	v_cmp_gt_u32_e32 vcc, v61, v33
	v_cndmask_b32_e64 v33, v37, 0, vcc
	v_cndmask_b32_e32 v31, v31, v36, vcc
	v_add_u32_e32 v30, v33, v30
	s_branch .LBB39_249
.LBB39_248:                             ;   in Loop: Header=BB39_249 Depth=1
	s_or_b64 exec, exec, s[4:5]
	v_cmp_eq_u16_sdwa s[4:5], v32, v27 src0_sel:BYTE_0 src1_sel:DWORD
	v_and_b32_e32 v33, s5, v29
	ds_bpermute_b32 v37, v46, v31
	v_or_b32_e32 v33, 0x80000000, v33
	v_and_b32_e32 v36, s4, v28
	v_ffbl_b32_e32 v33, v33
	v_add_u32_e32 v33, 32, v33
	v_ffbl_b32_e32 v36, v36
	v_min_u32_e32 v33, v36, v33
	ds_bpermute_b32 v36, v46, v30
	v_and_b32_e32 v62, 1, v31
	s_waitcnt lgkmcnt(1)
	v_and_b32_e32 v37, 1, v37
	v_cmp_eq_u32_e32 vcc, 1, v62
	v_cndmask_b32_e64 v37, v37, 1, vcc
	v_cmp_gt_u64_e32 vcc, s[46:47], v[30:31]
	v_and_b32_e32 v62, 0xffff, v37
	v_cmp_lt_u32_e64 s[4:5], v45, v33
	v_cndmask_b32_e64 v37, v31, v37, s[4:5]
	v_cndmask_b32_e64 v31, v31, v62, s[4:5]
	s_and_b64 vcc, s[4:5], vcc
	ds_bpermute_b32 v62, v47, v31
	s_waitcnt lgkmcnt(1)
	v_cndmask_b32_e32 v36, 0, v36, vcc
	v_add_u32_e32 v30, v36, v30
	ds_bpermute_b32 v36, v47, v30
	v_and_b32_e32 v63, 1, v37
	s_waitcnt lgkmcnt(1)
	v_and_b32_e32 v62, 1, v62
	v_cmp_eq_u32_e32 vcc, 1, v63
	v_cndmask_b32_e64 v62, v62, 1, vcc
	v_cmp_eq_u16_sdwa vcc, v37, v35 src0_sel:BYTE_0 src1_sel:DWORD
	v_and_b32_e32 v63, 0xffff, v62
	s_waitcnt lgkmcnt(0)
	v_cndmask_b32_e32 v36, 0, v36, vcc
	v_cmp_gt_u32_e32 vcc, v50, v33
	v_cndmask_b32_e32 v31, v63, v31, vcc
	v_cndmask_b32_e32 v37, v62, v37, vcc
	ds_bpermute_b32 v62, v51, v31
	v_cndmask_b32_e64 v36, v36, 0, vcc
	v_add_u32_e32 v30, v36, v30
	ds_bpermute_b32 v36, v51, v30
	v_and_b32_e32 v63, 1, v37
	s_waitcnt lgkmcnt(1)
	v_and_b32_e32 v62, 1, v62
	v_cmp_eq_u32_e32 vcc, 1, v63
	v_cndmask_b32_e64 v62, v62, 1, vcc
	v_cmp_eq_u16_sdwa vcc, v37, v35 src0_sel:BYTE_0 src1_sel:DWORD
	v_and_b32_e32 v63, 0xffff, v62
	s_waitcnt lgkmcnt(0)
	v_cndmask_b32_e32 v36, 0, v36, vcc
	v_cmp_gt_u32_e32 vcc, v52, v33
	v_cndmask_b32_e32 v31, v63, v31, vcc
	v_cndmask_b32_e32 v37, v62, v37, vcc
	ds_bpermute_b32 v62, v53, v31
	v_cndmask_b32_e64 v36, v36, 0, vcc
	;; [unrolled: 16-line block ×3, first 2 shown]
	v_add_u32_e32 v30, v36, v30
	ds_bpermute_b32 v36, v55, v30
	v_and_b32_e32 v63, 1, v37
	s_waitcnt lgkmcnt(1)
	v_and_b32_e32 v62, 1, v62
	v_cmp_eq_u32_e32 vcc, 1, v63
	v_cndmask_b32_e64 v62, v62, 1, vcc
	v_cmp_eq_u16_sdwa vcc, v37, v35 src0_sel:BYTE_0 src1_sel:DWORD
	v_and_b32_e32 v63, 0xffff, v62
	s_waitcnt lgkmcnt(0)
	v_cndmask_b32_e32 v36, 0, v36, vcc
	v_cmp_gt_u32_e32 vcc, v58, v33
	v_cndmask_b32_e64 v36, v36, 0, vcc
	v_cndmask_b32_e32 v31, v63, v31, vcc
	ds_bpermute_b32 v31, v60, v31
	v_add_u32_e32 v30, v36, v30
	ds_bpermute_b32 v36, v60, v30
	v_cndmask_b32_e32 v37, v62, v37, vcc
	v_and_b32_e32 v62, 1, v37
	v_cmp_eq_u32_e32 vcc, 1, v62
	s_waitcnt lgkmcnt(1)
	v_cndmask_b32_e64 v31, v31, 1, vcc
	v_cmp_eq_u16_sdwa vcc, v37, v35 src0_sel:BYTE_0 src1_sel:DWORD
	s_waitcnt lgkmcnt(0)
	v_cndmask_b32_e32 v36, 0, v36, vcc
	v_cmp_gt_u32_e32 vcc, v61, v33
	v_cndmask_b32_e64 v33, v36, 0, vcc
	v_cndmask_b32_e32 v31, v31, v37, vcc
	v_add_u32_e32 v30, v33, v30
	v_cmp_eq_u16_sdwa vcc, v44, v35 src0_sel:BYTE_0 src1_sel:DWORD
	v_and_b32_e32 v33, 1, v44
	v_cndmask_b32_e32 v30, 0, v30, vcc
	v_and_b32_e32 v31, 1, v31
	v_cmp_eq_u32_e32 vcc, 1, v33
	v_subrev_u32_e32 v34, 64, v34
	v_add_u32_e32 v30, v30, v59
	v_cndmask_b32_e64 v31, v31, 1, vcc
.LBB39_249:                             ; =>This Loop Header: Depth=1
                                        ;     Child Loop BB39_252 Depth 2
	v_cmp_ne_u16_sdwa s[4:5], v32, v27 src0_sel:BYTE_0 src1_sel:DWORD
	v_mov_b32_e32 v44, v31
	v_cndmask_b32_e64 v31, 0, 1, s[4:5]
	;;#ASMSTART
	;;#ASMEND
	v_cmp_ne_u32_e32 vcc, 0, v31
	s_cmp_lg_u64 vcc, exec
	v_mov_b32_e32 v59, v30
	s_cbranch_scc1 .LBB39_254
; %bb.250:                              ;   in Loop: Header=BB39_249 Depth=1
	v_lshlrev_b64 v[30:31], 4, v[34:35]
	v_mov_b32_e32 v32, s57
	v_add_co_u32_e32 v36, vcc, s56, v30
	v_addc_co_u32_e32 v37, vcc, v32, v31, vcc
	;;#ASMSTART
	global_load_dwordx4 v[30:33], v[36:37] off glc	
s_waitcnt vmcnt(0)
	;;#ASMEND
	v_and_b32_e32 v33, 0xff0000, v30
	v_or_b32_sdwa v33, v30, v33 dst_sel:DWORD dst_unused:UNUSED_PAD src0_sel:WORD_0 src1_sel:DWORD
	v_and_b32_e32 v30, 0xff000000, v30
	v_and_b32_e32 v31, 0xff, v31
	v_or3_b32 v31, 0, 0, v31
	v_or3_b32 v30, v33, v30, 0
	v_cmp_eq_u16_sdwa s[50:51], v32, v35 src0_sel:BYTE_0 src1_sel:DWORD
	s_and_saveexec_b64 s[4:5], s[50:51]
	s_cbranch_execz .LBB39_248
; %bb.251:                              ;   in Loop: Header=BB39_249 Depth=1
	s_mov_b64 s[50:51], 0
.LBB39_252:                             ;   Parent Loop BB39_249 Depth=1
                                        ; =>  This Inner Loop Header: Depth=2
	;;#ASMSTART
	global_load_dwordx4 v[30:33], v[36:37] off glc	
s_waitcnt vmcnt(0)
	;;#ASMEND
	v_cmp_ne_u16_sdwa s[54:55], v32, v35 src0_sel:BYTE_0 src1_sel:DWORD
	s_or_b64 s[50:51], s[54:55], s[50:51]
	s_andn2_b64 exec, exec, s[50:51]
	s_cbranch_execnz .LBB39_252
; %bb.253:                              ;   in Loop: Header=BB39_249 Depth=1
	s_or_b64 exec, exec, s[50:51]
	v_and_b32_e32 v31, 0xff, v31
	s_branch .LBB39_248
.LBB39_254:                             ;   in Loop: Header=BB39_249 Depth=1
                                        ; implicit-def: $vgpr31
                                        ; implicit-def: $vgpr30
                                        ; implicit-def: $vgpr32
	s_cbranch_execz .LBB39_249
; %bb.255:
	s_and_saveexec_b64 s[4:5], s[34:35]
	s_cbranch_execz .LBB39_257
; %bb.256:
	s_and_b32 s46, s52, 0xff
	s_cmp_eq_u32 s46, 0
	s_cselect_b64 vcc, -1, 0
	s_bitcmp1_b32 s52, 0
	s_mov_b32 s47, 0
	s_cselect_b64 s[50:51], -1, 0
	s_add_i32 s46, s59, 64
	s_lshl_b64 s[46:47], s[46:47], 4
	v_cndmask_b32_e32 v27, 0, v59, vcc
	s_add_u32 s46, s56, s46
	v_add_u32_e32 v26, v27, v26
	v_and_b32_e32 v27, 1, v44
	s_addc_u32 s47, s57, s47
	v_mov_b32_e32 v29, 0
	v_cndmask_b32_e64 v27, v27, 1, s[50:51]
	v_mov_b32_e32 v28, 2
	v_pk_mov_b32 v[30:31], s[46:47], s[46:47] op_sel:[0,1]
	;;#ASMSTART
	global_store_dwordx4 v[30:31], v[26:29] off	
s_waitcnt vmcnt(0)
	;;#ASMEND
.LBB39_257:
	s_or_b64 exec, exec, s[4:5]
	s_and_b64 exec, exec, s[0:1]
	s_cbranch_execz .LBB39_259
; %bb.258:
	v_mov_b32_e32 v26, 0
	ds_write_b32 v26, v59 offset:24
	ds_write_b8 v26, v44 offset:28
.LBB39_259:
	s_or_b64 exec, exec, s[40:41]
	s_mov_b32 s4, 0
	v_mov_b32_e32 v28, 0
	s_mov_b32 s5, 1
	s_waitcnt lgkmcnt(0)
	v_cndmask_b32_e64 v26, v43, v41, s[34:35]
	v_cndmask_b32_e64 v27, v42, v40, s[34:35]
	s_barrier
	ds_read_b32 v29, v28 offset:24
	v_cmp_gt_u64_e32 vcc, s[4:5], v[56:57]
	v_and_b32_e32 v30, 1, v57
	v_cndmask_b32_e32 v27, 0, v27, vcc
	v_and_b32_e32 v26, 1, v26
	v_cmp_eq_u32_e32 vcc, 1, v30
	v_cndmask_b32_e64 v26, v26, 1, vcc
	v_cndmask_b32_e64 v26, v26, v57, s[0:1]
	v_cmp_eq_u16_sdwa vcc, v26, v28 src0_sel:BYTE_0 src1_sel:DWORD
	v_cndmask_b32_e64 v27, v27, 0, s[0:1]
	s_waitcnt lgkmcnt(0)
	v_cndmask_b32_e32 v26, 0, v29, vcc
	v_add3_u32 v26, v27, v56, v26
	v_cndmask_b32_e64 v27, 0, v26, s[6:7]
	v_add_u32_e32 v27, v27, v2
	v_cndmask_b32_e64 v28, 0, v27, s[8:9]
	v_add_u32_e32 v40, v28, v4
	;; [unrolled: 2-line block ×13, first 2 shown]
	s_branch .LBB39_276
.LBB39_260:
                                        ; implicit-def: $vgpr47
                                        ; implicit-def: $vgpr45
                                        ; implicit-def: $vgpr43
                                        ; implicit-def: $vgpr41
                                        ; implicit-def: $vgpr34_vgpr35_vgpr36_vgpr37
                                        ; implicit-def: $vgpr30_vgpr31_vgpr32_vgpr33
                                        ; implicit-def: $vgpr26_vgpr27_vgpr28_vgpr29
	s_cbranch_execz .LBB39_276
; %bb.261:
	s_cmp_lg_u64 s[60:61], 0
	s_cselect_b32 s9, s43, 0
	s_cselect_b32 s8, s42, 0
	s_cmp_lg_u64 s[8:9], 0
	s_cselect_b64 s[6:7], -1, 0
	s_mov_b32 s4, 0
	s_and_b64 s[10:11], s[0:1], s[6:7]
	s_and_saveexec_b64 s[6:7], s[10:11]
	s_cbranch_execz .LBB39_263
; %bb.262:
	v_mov_b32_e32 v26, 0
	global_load_dword v28, v26, s[8:9]
	global_load_ubyte v29, v26, s[8:9] offset:4
	s_mov_b32 s5, 1
	v_and_b32_e32 v27, 1, v57
	v_cmp_gt_u64_e32 vcc, s[4:5], v[56:57]
	s_waitcnt vmcnt(1)
	v_cndmask_b32_e32 v28, 0, v28, vcc
	s_waitcnt vmcnt(0)
	v_and_b32_e32 v29, 1, v29
	v_cmp_eq_u64_e32 vcc, 0, v[26:27]
	v_add_u32_e32 v56, v28, v56
	v_cndmask_b32_e32 v57, 1, v29, vcc
.LBB39_263:
	s_or_b64 exec, exec, s[6:7]
	s_mov_b32 s5, 1
	v_cmp_gt_u64_e32 vcc, s[4:5], v[2:3]
	v_cndmask_b32_e32 v26, 0, v56, vcc
	v_add_u32_e32 v27, v26, v2
	v_cmp_gt_u64_e64 s[6:7], s[4:5], v[4:5]
	v_cndmask_b32_e64 v26, 0, v27, s[6:7]
	v_add_u32_e32 v40, v26, v4
	v_cmp_gt_u64_e64 s[8:9], s[4:5], v[6:7]
	v_cndmask_b32_e64 v26, 0, v40, s[8:9]
	;; [unrolled: 3-line block ×6, first 2 shown]
	v_add_u32_e32 v43, v26, v14
	v_cmp_gt_u64_e64 s[18:19], s[4:5], v[16:17]
	v_mov_b32_e32 v28, 0
	v_cndmask_b32_e64 v26, 0, v43, s[18:19]
	v_or3_b32 v7, v23, v15, v7
	v_add_u32_e32 v34, v26, v16
	v_cmp_gt_u64_e64 s[20:21], s[4:5], v[18:19]
	v_or3_b32 v9, v25, v17, v9
	v_and_b32_e32 v51, 1, v7
	v_mov_b32_e32 v50, v28
	v_cndmask_b32_e64 v26, 0, v34, s[20:21]
	v_or3_b32 v3, v19, v11, v3
	v_and_b32_e32 v37, 1, v9
	v_mov_b32_e32 v36, v28
	v_cmp_ne_u64_e64 s[30:31], 0, v[50:51]
	v_add_u32_e32 v35, v26, v18
	v_cmp_gt_u64_e64 s[22:23], s[4:5], v[20:21]
	v_or3_b32 v5, v21, v13, v5
	v_and_b32_e32 v29, 1, v3
	v_cndmask_b32_e64 v3, 0, 1, s[30:31]
	v_cmp_ne_u64_e64 s[30:31], 0, v[36:37]
	v_cndmask_b32_e64 v26, 0, v35, s[22:23]
	v_and_b32_e32 v33, 1, v5
	v_mov_b32_e32 v32, v28
	v_cndmask_b32_e64 v5, 0, 1, s[30:31]
	v_add_u32_e32 v44, v26, v20
	v_cmp_gt_u64_e64 s[24:25], s[4:5], v[22:23]
	v_lshlrev_b16_e32 v3, 2, v3
	v_lshlrev_b16_e32 v5, 3, v5
	v_cmp_ne_u64_e64 s[30:31], 0, v[32:33]
	v_cndmask_b32_e64 v26, 0, v44, s[24:25]
	v_or_b32_e32 v3, v5, v3
	v_cndmask_b32_e64 v5, 0, 1, s[30:31]
	v_cmp_ne_u64_e64 s[30:31], 0, v[28:29]
	v_add_u32_e32 v45, v26, v22
	v_cmp_gt_u64_e64 s[26:27], s[4:5], v[24:25]
	v_lshlrev_b16_e32 v5, 1, v5
	v_cndmask_b32_e64 v7, 0, 1, s[30:31]
	v_cndmask_b32_e64 v26, 0, v45, s[26:27]
	v_or_b32_e32 v5, v7, v5
	v_add_u32_e32 v46, v26, v24
	v_cmp_gt_u64_e64 s[28:29], s[4:5], v[38:39]
	v_and_b32_e32 v5, 3, v5
	v_cndmask_b32_e64 v26, 0, v46, s[28:29]
	v_or_b32_e32 v3, v5, v3
	v_add_u32_e32 v47, v26, v38
	v_and_b32_e32 v26, 1, v39
	v_and_b32_e32 v3, 15, v3
	v_cmp_eq_u32_e64 s[4:5], 1, v26
	v_cmp_ne_u16_e64 s[30:31], 0, v3
	s_or_b64 s[4:5], s[4:5], s[30:31]
	v_cndmask_b32_e64 v5, v57, 1, s[4:5]
	v_mbcnt_hi_u32_b32 v3, -1, v49
	v_mov_b32_dpp v9, v47 row_shr:1 row_mask:0xf bank_mask:0xf
	v_mov_b32_dpp v11, v5 row_shr:1 row_mask:0xf bank_mask:0xf
	v_cmp_eq_u32_e64 s[4:5], 0, v5
	v_and_b32_e32 v13, 1, v5
	v_and_b32_e32 v7, 15, v3
	v_cndmask_b32_e64 v9, 0, v9, s[4:5]
	v_and_b32_e32 v11, 1, v11
	v_cmp_eq_u32_e64 s[4:5], 1, v13
	v_cndmask_b32_e64 v11, v11, 1, s[4:5]
	v_cmp_eq_u32_e64 s[4:5], 0, v7
	v_cndmask_b32_e64 v5, v11, v5, s[4:5]
	v_and_b32_e32 v15, 1, v5
	v_cmp_eq_u32_e64 s[30:31], 1, v15
	v_mov_b32_dpp v13, v5 row_shr:2 row_mask:0xf bank_mask:0xf
	v_and_b32_e32 v13, 1, v13
	v_cndmask_b32_e64 v13, v13, 1, s[30:31]
	v_cmp_lt_u32_e64 s[30:31], 1, v7
	v_cndmask_b32_e64 v9, v9, 0, s[4:5]
	v_cmp_eq_u32_e64 s[4:5], 0, v5
	v_cndmask_b32_e64 v5, v5, v13, s[30:31]
	v_add_u32_e32 v9, v47, v9
	v_and_b32_e32 v15, 1, v5
	v_mov_b32_dpp v13, v5 row_shr:4 row_mask:0xf bank_mask:0xf
	v_mov_b32_dpp v11, v9 row_shr:2 row_mask:0xf bank_mask:0xf
	s_and_b64 s[4:5], s[30:31], s[4:5]
	v_and_b32_e32 v13, 1, v13
	v_cmp_eq_u32_e64 s[30:31], 1, v15
	v_cndmask_b32_e64 v11, 0, v11, s[4:5]
	v_cndmask_b32_e64 v13, v13, 1, s[30:31]
	v_cmp_lt_u32_e64 s[30:31], 3, v7
	v_add_u32_e32 v9, v9, v11
	v_cmp_eq_u32_e64 s[4:5], 0, v5
	v_cndmask_b32_e64 v5, v5, v13, s[30:31]
	v_mov_b32_dpp v11, v9 row_shr:4 row_mask:0xf bank_mask:0xf
	s_and_b64 s[4:5], s[30:31], s[4:5]
	v_mov_b32_dpp v13, v5 row_shr:8 row_mask:0xf bank_mask:0xf
	v_and_b32_e32 v15, 1, v5
	v_cndmask_b32_e64 v11, 0, v11, s[4:5]
	v_and_b32_e32 v13, 1, v13
	v_cmp_eq_u32_e64 s[30:31], 1, v15
	v_add_u32_e32 v9, v9, v11
	v_cmp_eq_u32_e64 s[4:5], 0, v5
	v_cndmask_b32_e64 v13, v13, 1, s[30:31]
	v_cmp_lt_u32_e64 s[30:31], 7, v7
	v_mov_b32_dpp v11, v9 row_shr:8 row_mask:0xf bank_mask:0xf
	s_and_b64 s[4:5], s[30:31], s[4:5]
	v_cndmask_b32_e64 v7, 0, v11, s[4:5]
	v_cndmask_b32_e64 v5, v5, v13, s[30:31]
	v_add_u32_e32 v7, v9, v7
	v_cmp_eq_u32_e64 s[4:5], 0, v5
	v_mov_b32_dpp v11, v5 row_bcast:15 row_mask:0xf bank_mask:0xf
	v_mov_b32_dpp v9, v7 row_bcast:15 row_mask:0xf bank_mask:0xf
	v_and_b32_e32 v17, 1, v5
	v_and_b32_e32 v15, 16, v3
	v_cndmask_b32_e64 v9, 0, v9, s[4:5]
	v_and_b32_e32 v11, 1, v11
	v_cmp_eq_u32_e64 s[4:5], 1, v17
	v_bfe_i32 v13, v3, 4, 1
	v_cndmask_b32_e64 v11, v11, 1, s[4:5]
	v_cmp_eq_u32_e64 s[4:5], 0, v15
	v_and_b32_e32 v9, v13, v9
	v_cndmask_b32_e64 v5, v11, v5, s[4:5]
	v_add_u32_e32 v9, v7, v9
	v_and_b32_e32 v13, 1, v5
	v_mov_b32_dpp v7, v5 row_bcast:31 row_mask:0xf bank_mask:0xf
	v_and_b32_e32 v7, 1, v7
	v_cmp_eq_u32_e64 s[30:31], 1, v13
	v_cmp_eq_u32_e64 s[4:5], 0, v5
	v_cndmask_b32_e64 v7, v7, 1, s[30:31]
	v_cmp_lt_u32_e64 s[30:31], 31, v3
	v_mov_b32_dpp v11, v9 row_bcast:31 row_mask:0xf bank_mask:0xf
	s_and_b64 s[4:5], s[30:31], s[4:5]
	v_cndmask_b32_e64 v7, v5, v7, s[30:31]
	v_cndmask_b32_e64 v5, 0, v11, s[4:5]
	v_add_u32_e32 v5, v9, v5
	v_cmp_eq_u32_e64 s[4:5], v48, v0
	s_and_saveexec_b64 s[30:31], s[4:5]
	s_cbranch_execz .LBB39_265
; %bb.264:
	v_lshlrev_b32_e32 v9, 3, v1
	ds_write_b32 v9, v5
	ds_write_b8 v9, v7 offset:4
.LBB39_265:
	s_or_b64 exec, exec, s[30:31]
	v_cmp_gt_u32_e64 s[4:5], 4, v0
	s_waitcnt lgkmcnt(0)
	s_barrier
	s_and_saveexec_b64 s[30:31], s[4:5]
	s_cbranch_execz .LBB39_269
; %bb.266:
	v_lshlrev_b32_e32 v9, 3, v0
	ds_read_b64 v[28:29], v9
	v_and_b32_e32 v11, 3, v3
	v_cmp_ne_u32_e64 s[4:5], 0, v11
	s_waitcnt lgkmcnt(0)
	v_mov_b32_dpp v13, v28 row_shr:1 row_mask:0xf bank_mask:0xf
	v_mov_b32_dpp v17, v29 row_shr:1 row_mask:0xf bank_mask:0xf
	v_mov_b32_e32 v15, v29
	s_and_saveexec_b64 s[34:35], s[4:5]
	s_cbranch_execz .LBB39_268
; %bb.267:
	v_and_b32_e32 v15, 1, v29
	v_and_b32_e32 v17, 1, v17
	v_cmp_eq_u32_e64 s[4:5], 1, v15
	v_mov_b32_e32 v15, 0
	v_cndmask_b32_e64 v17, v17, 1, s[4:5]
	v_cmp_eq_u16_sdwa s[4:5], v29, v15 src0_sel:BYTE_0 src1_sel:DWORD
	v_cndmask_b32_e64 v13, 0, v13, s[4:5]
	v_add_u32_e32 v28, v13, v28
	v_and_b32_e32 v13, 0xffff, v17
	s_movk_i32 s4, 0xff00
	v_and_or_b32 v15, v29, s4, v13
	v_mov_b32_e32 v29, v17
.LBB39_268:
	s_or_b64 exec, exec, s[34:35]
	v_mov_b32_dpp v15, v15 row_shr:2 row_mask:0xf bank_mask:0xf
	v_and_b32_e32 v17, 1, v29
	v_and_b32_e32 v15, 1, v15
	v_cmp_eq_u32_e64 s[4:5], 1, v17
	v_mov_b32_e32 v17, 0
	v_cndmask_b32_e64 v15, v15, 1, s[4:5]
	v_cmp_eq_u16_sdwa s[34:35], v29, v17 src0_sel:BYTE_0 src1_sel:DWORD
	v_cmp_lt_u32_e64 s[4:5], 1, v11
	v_mov_b32_dpp v13, v28 row_shr:2 row_mask:0xf bank_mask:0xf
	v_cndmask_b32_e64 v11, v29, v15, s[4:5]
	s_and_b64 s[4:5], s[4:5], s[34:35]
	v_cndmask_b32_e64 v13, 0, v13, s[4:5]
	v_add_u32_e32 v13, v13, v28
	ds_write_b32 v9, v13
	ds_write_b8 v9, v11 offset:4
.LBB39_269:
	s_or_b64 exec, exec, s[30:31]
	v_cmp_lt_u32_e64 s[4:5], 63, v0
	v_mov_b32_e32 v9, 0
	s_waitcnt lgkmcnt(0)
	s_barrier
	s_and_saveexec_b64 s[30:31], s[4:5]
	s_cbranch_execz .LBB39_271
; %bb.270:
	v_lshl_add_u32 v1, v1, 3, -8
	ds_read_b32 v9, v1
	v_cmp_eq_u32_e64 s[4:5], 0, v7
	s_waitcnt lgkmcnt(0)
	v_cndmask_b32_e64 v1, 0, v9, s[4:5]
	v_add_u32_e32 v5, v1, v5
.LBB39_271:
	s_or_b64 exec, exec, s[30:31]
	v_add_u32_e32 v1, -1, v3
	v_and_b32_e32 v7, 64, v3
	v_cmp_lt_i32_e64 s[4:5], v1, v7
	v_cndmask_b32_e64 v1, v1, v3, s[4:5]
	v_lshlrev_b32_e32 v1, 2, v1
	ds_bpermute_b32 v1, v1, v5
	s_and_saveexec_b64 s[30:31], s[36:37]
	s_cbranch_execz .LBB39_273
; %bb.272:
	v_and_b32_e32 v27, 0xff, v57
	v_mov_b32_e32 v26, 0
	v_cmp_eq_u32_e64 s[4:5], 0, v3
	s_waitcnt lgkmcnt(0)
	v_cndmask_b32_e64 v1, v1, v9, s[4:5]
	v_cmp_eq_u64_e64 s[4:5], 0, v[26:27]
	v_cndmask_b32_e64 v1, 0, v1, s[4:5]
	v_add_u32_e32 v56, v1, v56
	v_cndmask_b32_e32 v1, 0, v56, vcc
	v_add_u32_e32 v27, v1, v2
	v_cndmask_b32_e64 v1, 0, v27, s[6:7]
	v_add_u32_e32 v40, v1, v4
	v_cndmask_b32_e64 v1, 0, v40, s[8:9]
	;; [unrolled: 2-line block ×12, first 2 shown]
	v_add_u32_e32 v47, v1, v38
	;;#ASMSTART
	;;#ASMEND
.LBB39_273:
	s_or_b64 exec, exec, s[30:31]
	s_and_saveexec_b64 s[4:5], s[0:1]
	s_cbranch_execz .LBB39_275
; %bb.274:
	v_mov_b32_e32 v5, 0
	ds_read_b32 v2, v5 offset:24
	ds_read_u8 v3, v5 offset:28
	s_add_u32 s0, s56, 0x400
	s_addc_u32 s1, s57, 0
	v_mov_b32_e32 v4, 2
	v_pk_mov_b32 v[6:7], s[0:1], s[0:1] op_sel:[0,1]
	s_waitcnt lgkmcnt(0)
	;;#ASMSTART
	global_store_dwordx4 v[6:7], v[2:5] off	
s_waitcnt vmcnt(0)
	;;#ASMEND
.LBB39_275:
	s_or_b64 exec, exec, s[4:5]
	v_mov_b32_e32 v26, v56
.LBB39_276:
	s_add_u32 s0, s38, s48
	s_addc_u32 s1, s39, s49
	s_add_u32 s4, s0, s44
	s_waitcnt lgkmcnt(0)
	v_mul_u32_u24_e32 v1, 14, v0
	s_addc_u32 s5, s1, s45
	s_and_b64 vcc, exec, s[2:3]
	v_lshlrev_b32_e32 v2, 2, v1
	v_lshlrev_b32_e32 v18, 2, v0
	s_cbranch_vccz .LBB39_304
; %bb.277:
	s_movk_i32 s0, 0xffcc
	v_mad_i32_i24 v3, v0, s0, v2
	s_barrier
	ds_write2_b64 v2, v[26:27], v[40:41] offset1:1
	ds_write2_b64 v2, v[30:31], v[42:43] offset0:2 offset1:3
	ds_write2_b64 v2, v[34:35], v[44:45] offset0:4 offset1:5
	ds_write_b64 v2, v[46:47] offset:48
	s_waitcnt lgkmcnt(0)
	s_barrier
	ds_read2st64_b32 v[16:17], v3 offset0:4 offset1:8
	ds_read2st64_b32 v[14:15], v3 offset0:12 offset1:16
	;; [unrolled: 1-line block ×6, first 2 shown]
	ds_read_b32 v3, v3 offset:13312
	v_mov_b32_e32 v7, s5
	v_add_co_u32_e32 v6, vcc, s4, v18
	s_add_i32 s33, s33, s58
	v_addc_co_u32_e32 v7, vcc, 0, v7, vcc
	v_mov_b32_e32 v1, 0
	v_cmp_gt_u32_e32 vcc, s33, v0
	s_and_saveexec_b64 s[0:1], vcc
	s_cbranch_execz .LBB39_279
; %bb.278:
	v_mul_i32_i24_e32 v19, 0xffffffcc, v0
	v_add_u32_e32 v19, v2, v19
	ds_read_b32 v19, v19
	s_waitcnt lgkmcnt(0)
	flat_store_dword v[6:7], v19
.LBB39_279:
	s_or_b64 exec, exec, s[0:1]
	v_or_b32_e32 v19, 0x100, v0
	v_cmp_gt_u32_e32 vcc, s33, v19
	s_and_saveexec_b64 s[0:1], vcc
	s_cbranch_execz .LBB39_281
; %bb.280:
	s_waitcnt lgkmcnt(0)
	flat_store_dword v[6:7], v16 offset:1024
.LBB39_281:
	s_or_b64 exec, exec, s[0:1]
	s_waitcnt lgkmcnt(0)
	v_or_b32_e32 v16, 0x200, v0
	v_cmp_gt_u32_e32 vcc, s33, v16
	s_and_saveexec_b64 s[0:1], vcc
	s_cbranch_execz .LBB39_283
; %bb.282:
	flat_store_dword v[6:7], v17 offset:2048
.LBB39_283:
	s_or_b64 exec, exec, s[0:1]
	v_or_b32_e32 v16, 0x300, v0
	v_cmp_gt_u32_e32 vcc, s33, v16
	s_and_saveexec_b64 s[0:1], vcc
	s_cbranch_execz .LBB39_285
; %bb.284:
	flat_store_dword v[6:7], v14 offset:3072
.LBB39_285:
	s_or_b64 exec, exec, s[0:1]
	v_or_b32_e32 v14, 0x400, v0
	v_cmp_gt_u32_e32 vcc, s33, v14
	s_and_saveexec_b64 s[0:1], vcc
	s_cbranch_execz .LBB39_287
; %bb.286:
	v_add_co_u32_e32 v16, vcc, 0x1000, v6
	v_addc_co_u32_e32 v17, vcc, 0, v7, vcc
	flat_store_dword v[16:17], v15
.LBB39_287:
	s_or_b64 exec, exec, s[0:1]
	v_or_b32_e32 v14, 0x500, v0
	v_cmp_gt_u32_e32 vcc, s33, v14
	s_and_saveexec_b64 s[0:1], vcc
	s_cbranch_execz .LBB39_289
; %bb.288:
	v_add_co_u32_e32 v14, vcc, 0x1000, v6
	v_addc_co_u32_e32 v15, vcc, 0, v7, vcc
	flat_store_dword v[14:15], v12 offset:1024
.LBB39_289:
	s_or_b64 exec, exec, s[0:1]
	v_or_b32_e32 v12, 0x600, v0
	v_cmp_gt_u32_e32 vcc, s33, v12
	s_and_saveexec_b64 s[0:1], vcc
	s_cbranch_execz .LBB39_291
; %bb.290:
	v_add_co_u32_e32 v14, vcc, 0x1000, v6
	v_addc_co_u32_e32 v15, vcc, 0, v7, vcc
	flat_store_dword v[14:15], v13 offset:2048
.LBB39_291:
	;; [unrolled: 10-line block ×3, first 2 shown]
	s_or_b64 exec, exec, s[0:1]
	v_or_b32_e32 v10, 0x800, v0
	v_cmp_gt_u32_e32 vcc, s33, v10
	s_and_saveexec_b64 s[0:1], vcc
	s_cbranch_execz .LBB39_295
; %bb.294:
	v_add_co_u32_e32 v12, vcc, 0x2000, v6
	v_addc_co_u32_e32 v13, vcc, 0, v7, vcc
	flat_store_dword v[12:13], v11
.LBB39_295:
	s_or_b64 exec, exec, s[0:1]
	v_or_b32_e32 v10, 0x900, v0
	v_cmp_gt_u32_e32 vcc, s33, v10
	s_and_saveexec_b64 s[0:1], vcc
	s_cbranch_execz .LBB39_297
; %bb.296:
	v_add_co_u32_e32 v10, vcc, 0x2000, v6
	v_addc_co_u32_e32 v11, vcc, 0, v7, vcc
	flat_store_dword v[10:11], v8 offset:1024
.LBB39_297:
	s_or_b64 exec, exec, s[0:1]
	v_or_b32_e32 v8, 0xa00, v0
	v_cmp_gt_u32_e32 vcc, s33, v8
	s_and_saveexec_b64 s[0:1], vcc
	s_cbranch_execz .LBB39_299
; %bb.298:
	v_add_co_u32_e32 v10, vcc, 0x2000, v6
	v_addc_co_u32_e32 v11, vcc, 0, v7, vcc
	flat_store_dword v[10:11], v9 offset:2048
.LBB39_299:
	;; [unrolled: 10-line block ×3, first 2 shown]
	s_or_b64 exec, exec, s[0:1]
	v_or_b32_e32 v4, 0xc00, v0
	v_cmp_gt_u32_e32 vcc, s33, v4
	s_and_saveexec_b64 s[0:1], vcc
	s_cbranch_execz .LBB39_303
; %bb.302:
	v_add_co_u32_e32 v6, vcc, 0x3000, v6
	v_addc_co_u32_e32 v7, vcc, 0, v7, vcc
	flat_store_dword v[6:7], v5
.LBB39_303:
	s_or_b64 exec, exec, s[0:1]
	v_or_b32_e32 v4, 0xd00, v0
	v_cmp_gt_u32_e64 s[0:1], s33, v4
	s_branch .LBB39_306
.LBB39_304:
	s_mov_b64 s[0:1], 0
                                        ; implicit-def: $vgpr3
	s_cbranch_execz .LBB39_306
; %bb.305:
	s_movk_i32 s2, 0xffcc
	s_waitcnt lgkmcnt(0)
	s_barrier
	ds_write2_b64 v2, v[26:27], v[40:41] offset1:1
	ds_write2_b64 v2, v[30:31], v[42:43] offset0:2 offset1:3
	ds_write2_b64 v2, v[34:35], v[44:45] offset0:4 offset1:5
	ds_write_b64 v2, v[46:47] offset:48
	v_mad_i32_i24 v2, v0, s2, v2
	v_mov_b32_e32 v17, s5
	v_add_co_u32_e32 v16, vcc, s4, v18
	s_waitcnt lgkmcnt(0)
	s_barrier
	ds_read2st64_b32 v[4:5], v2 offset1:4
	ds_read2st64_b32 v[6:7], v2 offset0:8 offset1:12
	ds_read2st64_b32 v[8:9], v2 offset0:16 offset1:20
	;; [unrolled: 1-line block ×6, first 2 shown]
	v_addc_co_u32_e32 v17, vcc, 0, v17, vcc
	s_movk_i32 s2, 0x1000
	s_waitcnt lgkmcnt(0)
	flat_store_dword v[16:17], v4
	flat_store_dword v[16:17], v5 offset:1024
	flat_store_dword v[16:17], v6 offset:2048
	;; [unrolled: 1-line block ×3, first 2 shown]
	v_add_co_u32_e32 v4, vcc, s2, v16
	v_addc_co_u32_e32 v5, vcc, 0, v17, vcc
	flat_store_dword v[4:5], v8
	flat_store_dword v[4:5], v9 offset:1024
	flat_store_dword v[4:5], v10 offset:2048
	;; [unrolled: 1-line block ×3, first 2 shown]
	v_add_co_u32_e32 v4, vcc, 0x2000, v16
	v_addc_co_u32_e32 v5, vcc, 0, v17, vcc
	flat_store_dword v[4:5], v12
	flat_store_dword v[4:5], v13 offset:1024
	flat_store_dword v[4:5], v14 offset:2048
	;; [unrolled: 1-line block ×3, first 2 shown]
	v_add_co_u32_e32 v4, vcc, 0x3000, v16
	v_mov_b32_e32 v1, 0
	v_addc_co_u32_e32 v5, vcc, 0, v17, vcc
	s_or_b64 s[0:1], s[0:1], exec
	flat_store_dword v[4:5], v2
.LBB39_306:
	s_and_saveexec_b64 s[2:3], s[0:1]
	s_cbranch_execnz .LBB39_308
; %bb.307:
	s_endpgm
.LBB39_308:
	v_lshlrev_b64 v[0:1], 2, v[0:1]
	v_mov_b32_e32 v2, s5
	v_add_co_u32_e32 v0, vcc, s4, v0
	v_addc_co_u32_e32 v1, vcc, v2, v1, vcc
	v_add_co_u32_e32 v0, vcc, 0x3000, v0
	v_addc_co_u32_e32 v1, vcc, 0, v1, vcc
	flat_store_dword v[0:1], v3 offset:1024
	s_endpgm
.LBB39_309:
                                        ; implicit-def: $vgpr6_vgpr7
	s_branch .LBB39_225
.LBB39_310:
                                        ; implicit-def: $vgpr54_vgpr55
	s_andn2_b64 vcc, exec, s[64:65]
	s_cbranch_vccz .LBB39_100
	s_branch .LBB39_101
.LBB39_311:
                                        ; implicit-def: $vgpr6_vgpr7
	s_andn2_b64 vcc, exec, s[8:9]
	s_cbranch_vccz .LBB39_221
	s_branch .LBB39_222
	.section	.rodata,"a",@progbits
	.p2align	6, 0x0
	.amdhsa_kernel _ZN7rocprim17ROCPRIM_400000_NS6detail17trampoline_kernelINS0_14default_configENS1_27scan_by_key_config_selectorImiEEZZNS1_16scan_by_key_implILNS1_25lookback_scan_determinismE0ELb0ES3_N6thrust23THRUST_200600_302600_NS18transform_iteratorI9row_indexNS9_17counting_iteratorImNS9_11use_defaultESD_SD_EESD_SD_EENS9_6detail15normal_iteratorINS9_10device_ptrIiEEEESK_iNS9_4plusIvEENS9_8equal_toIvEEiEE10hipError_tPvRmT2_T3_T4_T5_mT6_T7_P12ihipStream_tbENKUlT_T0_E_clISt17integral_constantIbLb0EES14_IbLb1EEEEDaS10_S11_EUlS10_E_NS1_11comp_targetILNS1_3genE4ELNS1_11target_archE910ELNS1_3gpuE8ELNS1_3repE0EEENS1_30default_config_static_selectorELNS0_4arch9wavefront6targetE1EEEvT1_
		.amdhsa_group_segment_fixed_size 32768
		.amdhsa_private_segment_fixed_size 0
		.amdhsa_kernarg_size 120
		.amdhsa_user_sgpr_count 6
		.amdhsa_user_sgpr_private_segment_buffer 1
		.amdhsa_user_sgpr_dispatch_ptr 0
		.amdhsa_user_sgpr_queue_ptr 0
		.amdhsa_user_sgpr_kernarg_segment_ptr 1
		.amdhsa_user_sgpr_dispatch_id 0
		.amdhsa_user_sgpr_flat_scratch_init 0
		.amdhsa_user_sgpr_kernarg_preload_length 0
		.amdhsa_user_sgpr_kernarg_preload_offset 0
		.amdhsa_user_sgpr_private_segment_size 0
		.amdhsa_uses_dynamic_stack 0
		.amdhsa_system_sgpr_private_segment_wavefront_offset 0
		.amdhsa_system_sgpr_workgroup_id_x 1
		.amdhsa_system_sgpr_workgroup_id_y 0
		.amdhsa_system_sgpr_workgroup_id_z 0
		.amdhsa_system_sgpr_workgroup_info 0
		.amdhsa_system_vgpr_workitem_id 0
		.amdhsa_next_free_vgpr 65
		.amdhsa_next_free_sgpr 76
		.amdhsa_accum_offset 68
		.amdhsa_reserve_vcc 1
		.amdhsa_reserve_flat_scratch 0
		.amdhsa_float_round_mode_32 0
		.amdhsa_float_round_mode_16_64 0
		.amdhsa_float_denorm_mode_32 3
		.amdhsa_float_denorm_mode_16_64 3
		.amdhsa_dx10_clamp 1
		.amdhsa_ieee_mode 1
		.amdhsa_fp16_overflow 0
		.amdhsa_tg_split 0
		.amdhsa_exception_fp_ieee_invalid_op 0
		.amdhsa_exception_fp_denorm_src 0
		.amdhsa_exception_fp_ieee_div_zero 0
		.amdhsa_exception_fp_ieee_overflow 0
		.amdhsa_exception_fp_ieee_underflow 0
		.amdhsa_exception_fp_ieee_inexact 0
		.amdhsa_exception_int_div_zero 0
	.end_amdhsa_kernel
	.section	.text._ZN7rocprim17ROCPRIM_400000_NS6detail17trampoline_kernelINS0_14default_configENS1_27scan_by_key_config_selectorImiEEZZNS1_16scan_by_key_implILNS1_25lookback_scan_determinismE0ELb0ES3_N6thrust23THRUST_200600_302600_NS18transform_iteratorI9row_indexNS9_17counting_iteratorImNS9_11use_defaultESD_SD_EESD_SD_EENS9_6detail15normal_iteratorINS9_10device_ptrIiEEEESK_iNS9_4plusIvEENS9_8equal_toIvEEiEE10hipError_tPvRmT2_T3_T4_T5_mT6_T7_P12ihipStream_tbENKUlT_T0_E_clISt17integral_constantIbLb0EES14_IbLb1EEEEDaS10_S11_EUlS10_E_NS1_11comp_targetILNS1_3genE4ELNS1_11target_archE910ELNS1_3gpuE8ELNS1_3repE0EEENS1_30default_config_static_selectorELNS0_4arch9wavefront6targetE1EEEvT1_,"axG",@progbits,_ZN7rocprim17ROCPRIM_400000_NS6detail17trampoline_kernelINS0_14default_configENS1_27scan_by_key_config_selectorImiEEZZNS1_16scan_by_key_implILNS1_25lookback_scan_determinismE0ELb0ES3_N6thrust23THRUST_200600_302600_NS18transform_iteratorI9row_indexNS9_17counting_iteratorImNS9_11use_defaultESD_SD_EESD_SD_EENS9_6detail15normal_iteratorINS9_10device_ptrIiEEEESK_iNS9_4plusIvEENS9_8equal_toIvEEiEE10hipError_tPvRmT2_T3_T4_T5_mT6_T7_P12ihipStream_tbENKUlT_T0_E_clISt17integral_constantIbLb0EES14_IbLb1EEEEDaS10_S11_EUlS10_E_NS1_11comp_targetILNS1_3genE4ELNS1_11target_archE910ELNS1_3gpuE8ELNS1_3repE0EEENS1_30default_config_static_selectorELNS0_4arch9wavefront6targetE1EEEvT1_,comdat
.Lfunc_end39:
	.size	_ZN7rocprim17ROCPRIM_400000_NS6detail17trampoline_kernelINS0_14default_configENS1_27scan_by_key_config_selectorImiEEZZNS1_16scan_by_key_implILNS1_25lookback_scan_determinismE0ELb0ES3_N6thrust23THRUST_200600_302600_NS18transform_iteratorI9row_indexNS9_17counting_iteratorImNS9_11use_defaultESD_SD_EESD_SD_EENS9_6detail15normal_iteratorINS9_10device_ptrIiEEEESK_iNS9_4plusIvEENS9_8equal_toIvEEiEE10hipError_tPvRmT2_T3_T4_T5_mT6_T7_P12ihipStream_tbENKUlT_T0_E_clISt17integral_constantIbLb0EES14_IbLb1EEEEDaS10_S11_EUlS10_E_NS1_11comp_targetILNS1_3genE4ELNS1_11target_archE910ELNS1_3gpuE8ELNS1_3repE0EEENS1_30default_config_static_selectorELNS0_4arch9wavefront6targetE1EEEvT1_, .Lfunc_end39-_ZN7rocprim17ROCPRIM_400000_NS6detail17trampoline_kernelINS0_14default_configENS1_27scan_by_key_config_selectorImiEEZZNS1_16scan_by_key_implILNS1_25lookback_scan_determinismE0ELb0ES3_N6thrust23THRUST_200600_302600_NS18transform_iteratorI9row_indexNS9_17counting_iteratorImNS9_11use_defaultESD_SD_EESD_SD_EENS9_6detail15normal_iteratorINS9_10device_ptrIiEEEESK_iNS9_4plusIvEENS9_8equal_toIvEEiEE10hipError_tPvRmT2_T3_T4_T5_mT6_T7_P12ihipStream_tbENKUlT_T0_E_clISt17integral_constantIbLb0EES14_IbLb1EEEEDaS10_S11_EUlS10_E_NS1_11comp_targetILNS1_3genE4ELNS1_11target_archE910ELNS1_3gpuE8ELNS1_3repE0EEENS1_30default_config_static_selectorELNS0_4arch9wavefront6targetE1EEEvT1_
                                        ; -- End function
	.section	.AMDGPU.csdata,"",@progbits
; Kernel info:
; codeLenInByte = 34816
; NumSgprs: 80
; NumVgprs: 65
; NumAgprs: 0
; TotalNumVgprs: 65
; ScratchSize: 0
; MemoryBound: 0
; FloatMode: 240
; IeeeMode: 1
; LDSByteSize: 32768 bytes/workgroup (compile time only)
; SGPRBlocks: 9
; VGPRBlocks: 8
; NumSGPRsForWavesPerEU: 80
; NumVGPRsForWavesPerEU: 65
; AccumOffset: 68
; Occupancy: 2
; WaveLimiterHint : 1
; COMPUTE_PGM_RSRC2:SCRATCH_EN: 0
; COMPUTE_PGM_RSRC2:USER_SGPR: 6
; COMPUTE_PGM_RSRC2:TRAP_HANDLER: 0
; COMPUTE_PGM_RSRC2:TGID_X_EN: 1
; COMPUTE_PGM_RSRC2:TGID_Y_EN: 0
; COMPUTE_PGM_RSRC2:TGID_Z_EN: 0
; COMPUTE_PGM_RSRC2:TIDIG_COMP_CNT: 0
; COMPUTE_PGM_RSRC3_GFX90A:ACCUM_OFFSET: 16
; COMPUTE_PGM_RSRC3_GFX90A:TG_SPLIT: 0
	.section	.text._ZN7rocprim17ROCPRIM_400000_NS6detail17trampoline_kernelINS0_14default_configENS1_27scan_by_key_config_selectorImiEEZZNS1_16scan_by_key_implILNS1_25lookback_scan_determinismE0ELb0ES3_N6thrust23THRUST_200600_302600_NS18transform_iteratorI9row_indexNS9_17counting_iteratorImNS9_11use_defaultESD_SD_EESD_SD_EENS9_6detail15normal_iteratorINS9_10device_ptrIiEEEESK_iNS9_4plusIvEENS9_8equal_toIvEEiEE10hipError_tPvRmT2_T3_T4_T5_mT6_T7_P12ihipStream_tbENKUlT_T0_E_clISt17integral_constantIbLb0EES14_IbLb1EEEEDaS10_S11_EUlS10_E_NS1_11comp_targetILNS1_3genE3ELNS1_11target_archE908ELNS1_3gpuE7ELNS1_3repE0EEENS1_30default_config_static_selectorELNS0_4arch9wavefront6targetE1EEEvT1_,"axG",@progbits,_ZN7rocprim17ROCPRIM_400000_NS6detail17trampoline_kernelINS0_14default_configENS1_27scan_by_key_config_selectorImiEEZZNS1_16scan_by_key_implILNS1_25lookback_scan_determinismE0ELb0ES3_N6thrust23THRUST_200600_302600_NS18transform_iteratorI9row_indexNS9_17counting_iteratorImNS9_11use_defaultESD_SD_EESD_SD_EENS9_6detail15normal_iteratorINS9_10device_ptrIiEEEESK_iNS9_4plusIvEENS9_8equal_toIvEEiEE10hipError_tPvRmT2_T3_T4_T5_mT6_T7_P12ihipStream_tbENKUlT_T0_E_clISt17integral_constantIbLb0EES14_IbLb1EEEEDaS10_S11_EUlS10_E_NS1_11comp_targetILNS1_3genE3ELNS1_11target_archE908ELNS1_3gpuE7ELNS1_3repE0EEENS1_30default_config_static_selectorELNS0_4arch9wavefront6targetE1EEEvT1_,comdat
	.protected	_ZN7rocprim17ROCPRIM_400000_NS6detail17trampoline_kernelINS0_14default_configENS1_27scan_by_key_config_selectorImiEEZZNS1_16scan_by_key_implILNS1_25lookback_scan_determinismE0ELb0ES3_N6thrust23THRUST_200600_302600_NS18transform_iteratorI9row_indexNS9_17counting_iteratorImNS9_11use_defaultESD_SD_EESD_SD_EENS9_6detail15normal_iteratorINS9_10device_ptrIiEEEESK_iNS9_4plusIvEENS9_8equal_toIvEEiEE10hipError_tPvRmT2_T3_T4_T5_mT6_T7_P12ihipStream_tbENKUlT_T0_E_clISt17integral_constantIbLb0EES14_IbLb1EEEEDaS10_S11_EUlS10_E_NS1_11comp_targetILNS1_3genE3ELNS1_11target_archE908ELNS1_3gpuE7ELNS1_3repE0EEENS1_30default_config_static_selectorELNS0_4arch9wavefront6targetE1EEEvT1_ ; -- Begin function _ZN7rocprim17ROCPRIM_400000_NS6detail17trampoline_kernelINS0_14default_configENS1_27scan_by_key_config_selectorImiEEZZNS1_16scan_by_key_implILNS1_25lookback_scan_determinismE0ELb0ES3_N6thrust23THRUST_200600_302600_NS18transform_iteratorI9row_indexNS9_17counting_iteratorImNS9_11use_defaultESD_SD_EESD_SD_EENS9_6detail15normal_iteratorINS9_10device_ptrIiEEEESK_iNS9_4plusIvEENS9_8equal_toIvEEiEE10hipError_tPvRmT2_T3_T4_T5_mT6_T7_P12ihipStream_tbENKUlT_T0_E_clISt17integral_constantIbLb0EES14_IbLb1EEEEDaS10_S11_EUlS10_E_NS1_11comp_targetILNS1_3genE3ELNS1_11target_archE908ELNS1_3gpuE7ELNS1_3repE0EEENS1_30default_config_static_selectorELNS0_4arch9wavefront6targetE1EEEvT1_
	.globl	_ZN7rocprim17ROCPRIM_400000_NS6detail17trampoline_kernelINS0_14default_configENS1_27scan_by_key_config_selectorImiEEZZNS1_16scan_by_key_implILNS1_25lookback_scan_determinismE0ELb0ES3_N6thrust23THRUST_200600_302600_NS18transform_iteratorI9row_indexNS9_17counting_iteratorImNS9_11use_defaultESD_SD_EESD_SD_EENS9_6detail15normal_iteratorINS9_10device_ptrIiEEEESK_iNS9_4plusIvEENS9_8equal_toIvEEiEE10hipError_tPvRmT2_T3_T4_T5_mT6_T7_P12ihipStream_tbENKUlT_T0_E_clISt17integral_constantIbLb0EES14_IbLb1EEEEDaS10_S11_EUlS10_E_NS1_11comp_targetILNS1_3genE3ELNS1_11target_archE908ELNS1_3gpuE7ELNS1_3repE0EEENS1_30default_config_static_selectorELNS0_4arch9wavefront6targetE1EEEvT1_
	.p2align	8
	.type	_ZN7rocprim17ROCPRIM_400000_NS6detail17trampoline_kernelINS0_14default_configENS1_27scan_by_key_config_selectorImiEEZZNS1_16scan_by_key_implILNS1_25lookback_scan_determinismE0ELb0ES3_N6thrust23THRUST_200600_302600_NS18transform_iteratorI9row_indexNS9_17counting_iteratorImNS9_11use_defaultESD_SD_EESD_SD_EENS9_6detail15normal_iteratorINS9_10device_ptrIiEEEESK_iNS9_4plusIvEENS9_8equal_toIvEEiEE10hipError_tPvRmT2_T3_T4_T5_mT6_T7_P12ihipStream_tbENKUlT_T0_E_clISt17integral_constantIbLb0EES14_IbLb1EEEEDaS10_S11_EUlS10_E_NS1_11comp_targetILNS1_3genE3ELNS1_11target_archE908ELNS1_3gpuE7ELNS1_3repE0EEENS1_30default_config_static_selectorELNS0_4arch9wavefront6targetE1EEEvT1_,@function
_ZN7rocprim17ROCPRIM_400000_NS6detail17trampoline_kernelINS0_14default_configENS1_27scan_by_key_config_selectorImiEEZZNS1_16scan_by_key_implILNS1_25lookback_scan_determinismE0ELb0ES3_N6thrust23THRUST_200600_302600_NS18transform_iteratorI9row_indexNS9_17counting_iteratorImNS9_11use_defaultESD_SD_EESD_SD_EENS9_6detail15normal_iteratorINS9_10device_ptrIiEEEESK_iNS9_4plusIvEENS9_8equal_toIvEEiEE10hipError_tPvRmT2_T3_T4_T5_mT6_T7_P12ihipStream_tbENKUlT_T0_E_clISt17integral_constantIbLb0EES14_IbLb1EEEEDaS10_S11_EUlS10_E_NS1_11comp_targetILNS1_3genE3ELNS1_11target_archE908ELNS1_3gpuE7ELNS1_3repE0EEENS1_30default_config_static_selectorELNS0_4arch9wavefront6targetE1EEEvT1_: ; @_ZN7rocprim17ROCPRIM_400000_NS6detail17trampoline_kernelINS0_14default_configENS1_27scan_by_key_config_selectorImiEEZZNS1_16scan_by_key_implILNS1_25lookback_scan_determinismE0ELb0ES3_N6thrust23THRUST_200600_302600_NS18transform_iteratorI9row_indexNS9_17counting_iteratorImNS9_11use_defaultESD_SD_EESD_SD_EENS9_6detail15normal_iteratorINS9_10device_ptrIiEEEESK_iNS9_4plusIvEENS9_8equal_toIvEEiEE10hipError_tPvRmT2_T3_T4_T5_mT6_T7_P12ihipStream_tbENKUlT_T0_E_clISt17integral_constantIbLb0EES14_IbLb1EEEEDaS10_S11_EUlS10_E_NS1_11comp_targetILNS1_3genE3ELNS1_11target_archE908ELNS1_3gpuE7ELNS1_3repE0EEENS1_30default_config_static_selectorELNS0_4arch9wavefront6targetE1EEEvT1_
; %bb.0:
	.section	.rodata,"a",@progbits
	.p2align	6, 0x0
	.amdhsa_kernel _ZN7rocprim17ROCPRIM_400000_NS6detail17trampoline_kernelINS0_14default_configENS1_27scan_by_key_config_selectorImiEEZZNS1_16scan_by_key_implILNS1_25lookback_scan_determinismE0ELb0ES3_N6thrust23THRUST_200600_302600_NS18transform_iteratorI9row_indexNS9_17counting_iteratorImNS9_11use_defaultESD_SD_EESD_SD_EENS9_6detail15normal_iteratorINS9_10device_ptrIiEEEESK_iNS9_4plusIvEENS9_8equal_toIvEEiEE10hipError_tPvRmT2_T3_T4_T5_mT6_T7_P12ihipStream_tbENKUlT_T0_E_clISt17integral_constantIbLb0EES14_IbLb1EEEEDaS10_S11_EUlS10_E_NS1_11comp_targetILNS1_3genE3ELNS1_11target_archE908ELNS1_3gpuE7ELNS1_3repE0EEENS1_30default_config_static_selectorELNS0_4arch9wavefront6targetE1EEEvT1_
		.amdhsa_group_segment_fixed_size 0
		.amdhsa_private_segment_fixed_size 0
		.amdhsa_kernarg_size 120
		.amdhsa_user_sgpr_count 6
		.amdhsa_user_sgpr_private_segment_buffer 1
		.amdhsa_user_sgpr_dispatch_ptr 0
		.amdhsa_user_sgpr_queue_ptr 0
		.amdhsa_user_sgpr_kernarg_segment_ptr 1
		.amdhsa_user_sgpr_dispatch_id 0
		.amdhsa_user_sgpr_flat_scratch_init 0
		.amdhsa_user_sgpr_kernarg_preload_length 0
		.amdhsa_user_sgpr_kernarg_preload_offset 0
		.amdhsa_user_sgpr_private_segment_size 0
		.amdhsa_uses_dynamic_stack 0
		.amdhsa_system_sgpr_private_segment_wavefront_offset 0
		.amdhsa_system_sgpr_workgroup_id_x 1
		.amdhsa_system_sgpr_workgroup_id_y 0
		.amdhsa_system_sgpr_workgroup_id_z 0
		.amdhsa_system_sgpr_workgroup_info 0
		.amdhsa_system_vgpr_workitem_id 0
		.amdhsa_next_free_vgpr 1
		.amdhsa_next_free_sgpr 0
		.amdhsa_accum_offset 4
		.amdhsa_reserve_vcc 0
		.amdhsa_reserve_flat_scratch 0
		.amdhsa_float_round_mode_32 0
		.amdhsa_float_round_mode_16_64 0
		.amdhsa_float_denorm_mode_32 3
		.amdhsa_float_denorm_mode_16_64 3
		.amdhsa_dx10_clamp 1
		.amdhsa_ieee_mode 1
		.amdhsa_fp16_overflow 0
		.amdhsa_tg_split 0
		.amdhsa_exception_fp_ieee_invalid_op 0
		.amdhsa_exception_fp_denorm_src 0
		.amdhsa_exception_fp_ieee_div_zero 0
		.amdhsa_exception_fp_ieee_overflow 0
		.amdhsa_exception_fp_ieee_underflow 0
		.amdhsa_exception_fp_ieee_inexact 0
		.amdhsa_exception_int_div_zero 0
	.end_amdhsa_kernel
	.section	.text._ZN7rocprim17ROCPRIM_400000_NS6detail17trampoline_kernelINS0_14default_configENS1_27scan_by_key_config_selectorImiEEZZNS1_16scan_by_key_implILNS1_25lookback_scan_determinismE0ELb0ES3_N6thrust23THRUST_200600_302600_NS18transform_iteratorI9row_indexNS9_17counting_iteratorImNS9_11use_defaultESD_SD_EESD_SD_EENS9_6detail15normal_iteratorINS9_10device_ptrIiEEEESK_iNS9_4plusIvEENS9_8equal_toIvEEiEE10hipError_tPvRmT2_T3_T4_T5_mT6_T7_P12ihipStream_tbENKUlT_T0_E_clISt17integral_constantIbLb0EES14_IbLb1EEEEDaS10_S11_EUlS10_E_NS1_11comp_targetILNS1_3genE3ELNS1_11target_archE908ELNS1_3gpuE7ELNS1_3repE0EEENS1_30default_config_static_selectorELNS0_4arch9wavefront6targetE1EEEvT1_,"axG",@progbits,_ZN7rocprim17ROCPRIM_400000_NS6detail17trampoline_kernelINS0_14default_configENS1_27scan_by_key_config_selectorImiEEZZNS1_16scan_by_key_implILNS1_25lookback_scan_determinismE0ELb0ES3_N6thrust23THRUST_200600_302600_NS18transform_iteratorI9row_indexNS9_17counting_iteratorImNS9_11use_defaultESD_SD_EESD_SD_EENS9_6detail15normal_iteratorINS9_10device_ptrIiEEEESK_iNS9_4plusIvEENS9_8equal_toIvEEiEE10hipError_tPvRmT2_T3_T4_T5_mT6_T7_P12ihipStream_tbENKUlT_T0_E_clISt17integral_constantIbLb0EES14_IbLb1EEEEDaS10_S11_EUlS10_E_NS1_11comp_targetILNS1_3genE3ELNS1_11target_archE908ELNS1_3gpuE7ELNS1_3repE0EEENS1_30default_config_static_selectorELNS0_4arch9wavefront6targetE1EEEvT1_,comdat
.Lfunc_end40:
	.size	_ZN7rocprim17ROCPRIM_400000_NS6detail17trampoline_kernelINS0_14default_configENS1_27scan_by_key_config_selectorImiEEZZNS1_16scan_by_key_implILNS1_25lookback_scan_determinismE0ELb0ES3_N6thrust23THRUST_200600_302600_NS18transform_iteratorI9row_indexNS9_17counting_iteratorImNS9_11use_defaultESD_SD_EESD_SD_EENS9_6detail15normal_iteratorINS9_10device_ptrIiEEEESK_iNS9_4plusIvEENS9_8equal_toIvEEiEE10hipError_tPvRmT2_T3_T4_T5_mT6_T7_P12ihipStream_tbENKUlT_T0_E_clISt17integral_constantIbLb0EES14_IbLb1EEEEDaS10_S11_EUlS10_E_NS1_11comp_targetILNS1_3genE3ELNS1_11target_archE908ELNS1_3gpuE7ELNS1_3repE0EEENS1_30default_config_static_selectorELNS0_4arch9wavefront6targetE1EEEvT1_, .Lfunc_end40-_ZN7rocprim17ROCPRIM_400000_NS6detail17trampoline_kernelINS0_14default_configENS1_27scan_by_key_config_selectorImiEEZZNS1_16scan_by_key_implILNS1_25lookback_scan_determinismE0ELb0ES3_N6thrust23THRUST_200600_302600_NS18transform_iteratorI9row_indexNS9_17counting_iteratorImNS9_11use_defaultESD_SD_EESD_SD_EENS9_6detail15normal_iteratorINS9_10device_ptrIiEEEESK_iNS9_4plusIvEENS9_8equal_toIvEEiEE10hipError_tPvRmT2_T3_T4_T5_mT6_T7_P12ihipStream_tbENKUlT_T0_E_clISt17integral_constantIbLb0EES14_IbLb1EEEEDaS10_S11_EUlS10_E_NS1_11comp_targetILNS1_3genE3ELNS1_11target_archE908ELNS1_3gpuE7ELNS1_3repE0EEENS1_30default_config_static_selectorELNS0_4arch9wavefront6targetE1EEEvT1_
                                        ; -- End function
	.section	.AMDGPU.csdata,"",@progbits
; Kernel info:
; codeLenInByte = 0
; NumSgprs: 4
; NumVgprs: 0
; NumAgprs: 0
; TotalNumVgprs: 0
; ScratchSize: 0
; MemoryBound: 0
; FloatMode: 240
; IeeeMode: 1
; LDSByteSize: 0 bytes/workgroup (compile time only)
; SGPRBlocks: 0
; VGPRBlocks: 0
; NumSGPRsForWavesPerEU: 4
; NumVGPRsForWavesPerEU: 1
; AccumOffset: 4
; Occupancy: 8
; WaveLimiterHint : 0
; COMPUTE_PGM_RSRC2:SCRATCH_EN: 0
; COMPUTE_PGM_RSRC2:USER_SGPR: 6
; COMPUTE_PGM_RSRC2:TRAP_HANDLER: 0
; COMPUTE_PGM_RSRC2:TGID_X_EN: 1
; COMPUTE_PGM_RSRC2:TGID_Y_EN: 0
; COMPUTE_PGM_RSRC2:TGID_Z_EN: 0
; COMPUTE_PGM_RSRC2:TIDIG_COMP_CNT: 0
; COMPUTE_PGM_RSRC3_GFX90A:ACCUM_OFFSET: 0
; COMPUTE_PGM_RSRC3_GFX90A:TG_SPLIT: 0
	.section	.text._ZN7rocprim17ROCPRIM_400000_NS6detail17trampoline_kernelINS0_14default_configENS1_27scan_by_key_config_selectorImiEEZZNS1_16scan_by_key_implILNS1_25lookback_scan_determinismE0ELb0ES3_N6thrust23THRUST_200600_302600_NS18transform_iteratorI9row_indexNS9_17counting_iteratorImNS9_11use_defaultESD_SD_EESD_SD_EENS9_6detail15normal_iteratorINS9_10device_ptrIiEEEESK_iNS9_4plusIvEENS9_8equal_toIvEEiEE10hipError_tPvRmT2_T3_T4_T5_mT6_T7_P12ihipStream_tbENKUlT_T0_E_clISt17integral_constantIbLb0EES14_IbLb1EEEEDaS10_S11_EUlS10_E_NS1_11comp_targetILNS1_3genE2ELNS1_11target_archE906ELNS1_3gpuE6ELNS1_3repE0EEENS1_30default_config_static_selectorELNS0_4arch9wavefront6targetE1EEEvT1_,"axG",@progbits,_ZN7rocprim17ROCPRIM_400000_NS6detail17trampoline_kernelINS0_14default_configENS1_27scan_by_key_config_selectorImiEEZZNS1_16scan_by_key_implILNS1_25lookback_scan_determinismE0ELb0ES3_N6thrust23THRUST_200600_302600_NS18transform_iteratorI9row_indexNS9_17counting_iteratorImNS9_11use_defaultESD_SD_EESD_SD_EENS9_6detail15normal_iteratorINS9_10device_ptrIiEEEESK_iNS9_4plusIvEENS9_8equal_toIvEEiEE10hipError_tPvRmT2_T3_T4_T5_mT6_T7_P12ihipStream_tbENKUlT_T0_E_clISt17integral_constantIbLb0EES14_IbLb1EEEEDaS10_S11_EUlS10_E_NS1_11comp_targetILNS1_3genE2ELNS1_11target_archE906ELNS1_3gpuE6ELNS1_3repE0EEENS1_30default_config_static_selectorELNS0_4arch9wavefront6targetE1EEEvT1_,comdat
	.protected	_ZN7rocprim17ROCPRIM_400000_NS6detail17trampoline_kernelINS0_14default_configENS1_27scan_by_key_config_selectorImiEEZZNS1_16scan_by_key_implILNS1_25lookback_scan_determinismE0ELb0ES3_N6thrust23THRUST_200600_302600_NS18transform_iteratorI9row_indexNS9_17counting_iteratorImNS9_11use_defaultESD_SD_EESD_SD_EENS9_6detail15normal_iteratorINS9_10device_ptrIiEEEESK_iNS9_4plusIvEENS9_8equal_toIvEEiEE10hipError_tPvRmT2_T3_T4_T5_mT6_T7_P12ihipStream_tbENKUlT_T0_E_clISt17integral_constantIbLb0EES14_IbLb1EEEEDaS10_S11_EUlS10_E_NS1_11comp_targetILNS1_3genE2ELNS1_11target_archE906ELNS1_3gpuE6ELNS1_3repE0EEENS1_30default_config_static_selectorELNS0_4arch9wavefront6targetE1EEEvT1_ ; -- Begin function _ZN7rocprim17ROCPRIM_400000_NS6detail17trampoline_kernelINS0_14default_configENS1_27scan_by_key_config_selectorImiEEZZNS1_16scan_by_key_implILNS1_25lookback_scan_determinismE0ELb0ES3_N6thrust23THRUST_200600_302600_NS18transform_iteratorI9row_indexNS9_17counting_iteratorImNS9_11use_defaultESD_SD_EESD_SD_EENS9_6detail15normal_iteratorINS9_10device_ptrIiEEEESK_iNS9_4plusIvEENS9_8equal_toIvEEiEE10hipError_tPvRmT2_T3_T4_T5_mT6_T7_P12ihipStream_tbENKUlT_T0_E_clISt17integral_constantIbLb0EES14_IbLb1EEEEDaS10_S11_EUlS10_E_NS1_11comp_targetILNS1_3genE2ELNS1_11target_archE906ELNS1_3gpuE6ELNS1_3repE0EEENS1_30default_config_static_selectorELNS0_4arch9wavefront6targetE1EEEvT1_
	.globl	_ZN7rocprim17ROCPRIM_400000_NS6detail17trampoline_kernelINS0_14default_configENS1_27scan_by_key_config_selectorImiEEZZNS1_16scan_by_key_implILNS1_25lookback_scan_determinismE0ELb0ES3_N6thrust23THRUST_200600_302600_NS18transform_iteratorI9row_indexNS9_17counting_iteratorImNS9_11use_defaultESD_SD_EESD_SD_EENS9_6detail15normal_iteratorINS9_10device_ptrIiEEEESK_iNS9_4plusIvEENS9_8equal_toIvEEiEE10hipError_tPvRmT2_T3_T4_T5_mT6_T7_P12ihipStream_tbENKUlT_T0_E_clISt17integral_constantIbLb0EES14_IbLb1EEEEDaS10_S11_EUlS10_E_NS1_11comp_targetILNS1_3genE2ELNS1_11target_archE906ELNS1_3gpuE6ELNS1_3repE0EEENS1_30default_config_static_selectorELNS0_4arch9wavefront6targetE1EEEvT1_
	.p2align	8
	.type	_ZN7rocprim17ROCPRIM_400000_NS6detail17trampoline_kernelINS0_14default_configENS1_27scan_by_key_config_selectorImiEEZZNS1_16scan_by_key_implILNS1_25lookback_scan_determinismE0ELb0ES3_N6thrust23THRUST_200600_302600_NS18transform_iteratorI9row_indexNS9_17counting_iteratorImNS9_11use_defaultESD_SD_EESD_SD_EENS9_6detail15normal_iteratorINS9_10device_ptrIiEEEESK_iNS9_4plusIvEENS9_8equal_toIvEEiEE10hipError_tPvRmT2_T3_T4_T5_mT6_T7_P12ihipStream_tbENKUlT_T0_E_clISt17integral_constantIbLb0EES14_IbLb1EEEEDaS10_S11_EUlS10_E_NS1_11comp_targetILNS1_3genE2ELNS1_11target_archE906ELNS1_3gpuE6ELNS1_3repE0EEENS1_30default_config_static_selectorELNS0_4arch9wavefront6targetE1EEEvT1_,@function
_ZN7rocprim17ROCPRIM_400000_NS6detail17trampoline_kernelINS0_14default_configENS1_27scan_by_key_config_selectorImiEEZZNS1_16scan_by_key_implILNS1_25lookback_scan_determinismE0ELb0ES3_N6thrust23THRUST_200600_302600_NS18transform_iteratorI9row_indexNS9_17counting_iteratorImNS9_11use_defaultESD_SD_EESD_SD_EENS9_6detail15normal_iteratorINS9_10device_ptrIiEEEESK_iNS9_4plusIvEENS9_8equal_toIvEEiEE10hipError_tPvRmT2_T3_T4_T5_mT6_T7_P12ihipStream_tbENKUlT_T0_E_clISt17integral_constantIbLb0EES14_IbLb1EEEEDaS10_S11_EUlS10_E_NS1_11comp_targetILNS1_3genE2ELNS1_11target_archE906ELNS1_3gpuE6ELNS1_3repE0EEENS1_30default_config_static_selectorELNS0_4arch9wavefront6targetE1EEEvT1_: ; @_ZN7rocprim17ROCPRIM_400000_NS6detail17trampoline_kernelINS0_14default_configENS1_27scan_by_key_config_selectorImiEEZZNS1_16scan_by_key_implILNS1_25lookback_scan_determinismE0ELb0ES3_N6thrust23THRUST_200600_302600_NS18transform_iteratorI9row_indexNS9_17counting_iteratorImNS9_11use_defaultESD_SD_EESD_SD_EENS9_6detail15normal_iteratorINS9_10device_ptrIiEEEESK_iNS9_4plusIvEENS9_8equal_toIvEEiEE10hipError_tPvRmT2_T3_T4_T5_mT6_T7_P12ihipStream_tbENKUlT_T0_E_clISt17integral_constantIbLb0EES14_IbLb1EEEEDaS10_S11_EUlS10_E_NS1_11comp_targetILNS1_3genE2ELNS1_11target_archE906ELNS1_3gpuE6ELNS1_3repE0EEENS1_30default_config_static_selectorELNS0_4arch9wavefront6targetE1EEEvT1_
; %bb.0:
	.section	.rodata,"a",@progbits
	.p2align	6, 0x0
	.amdhsa_kernel _ZN7rocprim17ROCPRIM_400000_NS6detail17trampoline_kernelINS0_14default_configENS1_27scan_by_key_config_selectorImiEEZZNS1_16scan_by_key_implILNS1_25lookback_scan_determinismE0ELb0ES3_N6thrust23THRUST_200600_302600_NS18transform_iteratorI9row_indexNS9_17counting_iteratorImNS9_11use_defaultESD_SD_EESD_SD_EENS9_6detail15normal_iteratorINS9_10device_ptrIiEEEESK_iNS9_4plusIvEENS9_8equal_toIvEEiEE10hipError_tPvRmT2_T3_T4_T5_mT6_T7_P12ihipStream_tbENKUlT_T0_E_clISt17integral_constantIbLb0EES14_IbLb1EEEEDaS10_S11_EUlS10_E_NS1_11comp_targetILNS1_3genE2ELNS1_11target_archE906ELNS1_3gpuE6ELNS1_3repE0EEENS1_30default_config_static_selectorELNS0_4arch9wavefront6targetE1EEEvT1_
		.amdhsa_group_segment_fixed_size 0
		.amdhsa_private_segment_fixed_size 0
		.amdhsa_kernarg_size 120
		.amdhsa_user_sgpr_count 6
		.amdhsa_user_sgpr_private_segment_buffer 1
		.amdhsa_user_sgpr_dispatch_ptr 0
		.amdhsa_user_sgpr_queue_ptr 0
		.amdhsa_user_sgpr_kernarg_segment_ptr 1
		.amdhsa_user_sgpr_dispatch_id 0
		.amdhsa_user_sgpr_flat_scratch_init 0
		.amdhsa_user_sgpr_kernarg_preload_length 0
		.amdhsa_user_sgpr_kernarg_preload_offset 0
		.amdhsa_user_sgpr_private_segment_size 0
		.amdhsa_uses_dynamic_stack 0
		.amdhsa_system_sgpr_private_segment_wavefront_offset 0
		.amdhsa_system_sgpr_workgroup_id_x 1
		.amdhsa_system_sgpr_workgroup_id_y 0
		.amdhsa_system_sgpr_workgroup_id_z 0
		.amdhsa_system_sgpr_workgroup_info 0
		.amdhsa_system_vgpr_workitem_id 0
		.amdhsa_next_free_vgpr 1
		.amdhsa_next_free_sgpr 0
		.amdhsa_accum_offset 4
		.amdhsa_reserve_vcc 0
		.amdhsa_reserve_flat_scratch 0
		.amdhsa_float_round_mode_32 0
		.amdhsa_float_round_mode_16_64 0
		.amdhsa_float_denorm_mode_32 3
		.amdhsa_float_denorm_mode_16_64 3
		.amdhsa_dx10_clamp 1
		.amdhsa_ieee_mode 1
		.amdhsa_fp16_overflow 0
		.amdhsa_tg_split 0
		.amdhsa_exception_fp_ieee_invalid_op 0
		.amdhsa_exception_fp_denorm_src 0
		.amdhsa_exception_fp_ieee_div_zero 0
		.amdhsa_exception_fp_ieee_overflow 0
		.amdhsa_exception_fp_ieee_underflow 0
		.amdhsa_exception_fp_ieee_inexact 0
		.amdhsa_exception_int_div_zero 0
	.end_amdhsa_kernel
	.section	.text._ZN7rocprim17ROCPRIM_400000_NS6detail17trampoline_kernelINS0_14default_configENS1_27scan_by_key_config_selectorImiEEZZNS1_16scan_by_key_implILNS1_25lookback_scan_determinismE0ELb0ES3_N6thrust23THRUST_200600_302600_NS18transform_iteratorI9row_indexNS9_17counting_iteratorImNS9_11use_defaultESD_SD_EESD_SD_EENS9_6detail15normal_iteratorINS9_10device_ptrIiEEEESK_iNS9_4plusIvEENS9_8equal_toIvEEiEE10hipError_tPvRmT2_T3_T4_T5_mT6_T7_P12ihipStream_tbENKUlT_T0_E_clISt17integral_constantIbLb0EES14_IbLb1EEEEDaS10_S11_EUlS10_E_NS1_11comp_targetILNS1_3genE2ELNS1_11target_archE906ELNS1_3gpuE6ELNS1_3repE0EEENS1_30default_config_static_selectorELNS0_4arch9wavefront6targetE1EEEvT1_,"axG",@progbits,_ZN7rocprim17ROCPRIM_400000_NS6detail17trampoline_kernelINS0_14default_configENS1_27scan_by_key_config_selectorImiEEZZNS1_16scan_by_key_implILNS1_25lookback_scan_determinismE0ELb0ES3_N6thrust23THRUST_200600_302600_NS18transform_iteratorI9row_indexNS9_17counting_iteratorImNS9_11use_defaultESD_SD_EESD_SD_EENS9_6detail15normal_iteratorINS9_10device_ptrIiEEEESK_iNS9_4plusIvEENS9_8equal_toIvEEiEE10hipError_tPvRmT2_T3_T4_T5_mT6_T7_P12ihipStream_tbENKUlT_T0_E_clISt17integral_constantIbLb0EES14_IbLb1EEEEDaS10_S11_EUlS10_E_NS1_11comp_targetILNS1_3genE2ELNS1_11target_archE906ELNS1_3gpuE6ELNS1_3repE0EEENS1_30default_config_static_selectorELNS0_4arch9wavefront6targetE1EEEvT1_,comdat
.Lfunc_end41:
	.size	_ZN7rocprim17ROCPRIM_400000_NS6detail17trampoline_kernelINS0_14default_configENS1_27scan_by_key_config_selectorImiEEZZNS1_16scan_by_key_implILNS1_25lookback_scan_determinismE0ELb0ES3_N6thrust23THRUST_200600_302600_NS18transform_iteratorI9row_indexNS9_17counting_iteratorImNS9_11use_defaultESD_SD_EESD_SD_EENS9_6detail15normal_iteratorINS9_10device_ptrIiEEEESK_iNS9_4plusIvEENS9_8equal_toIvEEiEE10hipError_tPvRmT2_T3_T4_T5_mT6_T7_P12ihipStream_tbENKUlT_T0_E_clISt17integral_constantIbLb0EES14_IbLb1EEEEDaS10_S11_EUlS10_E_NS1_11comp_targetILNS1_3genE2ELNS1_11target_archE906ELNS1_3gpuE6ELNS1_3repE0EEENS1_30default_config_static_selectorELNS0_4arch9wavefront6targetE1EEEvT1_, .Lfunc_end41-_ZN7rocprim17ROCPRIM_400000_NS6detail17trampoline_kernelINS0_14default_configENS1_27scan_by_key_config_selectorImiEEZZNS1_16scan_by_key_implILNS1_25lookback_scan_determinismE0ELb0ES3_N6thrust23THRUST_200600_302600_NS18transform_iteratorI9row_indexNS9_17counting_iteratorImNS9_11use_defaultESD_SD_EESD_SD_EENS9_6detail15normal_iteratorINS9_10device_ptrIiEEEESK_iNS9_4plusIvEENS9_8equal_toIvEEiEE10hipError_tPvRmT2_T3_T4_T5_mT6_T7_P12ihipStream_tbENKUlT_T0_E_clISt17integral_constantIbLb0EES14_IbLb1EEEEDaS10_S11_EUlS10_E_NS1_11comp_targetILNS1_3genE2ELNS1_11target_archE906ELNS1_3gpuE6ELNS1_3repE0EEENS1_30default_config_static_selectorELNS0_4arch9wavefront6targetE1EEEvT1_
                                        ; -- End function
	.section	.AMDGPU.csdata,"",@progbits
; Kernel info:
; codeLenInByte = 0
; NumSgprs: 4
; NumVgprs: 0
; NumAgprs: 0
; TotalNumVgprs: 0
; ScratchSize: 0
; MemoryBound: 0
; FloatMode: 240
; IeeeMode: 1
; LDSByteSize: 0 bytes/workgroup (compile time only)
; SGPRBlocks: 0
; VGPRBlocks: 0
; NumSGPRsForWavesPerEU: 4
; NumVGPRsForWavesPerEU: 1
; AccumOffset: 4
; Occupancy: 8
; WaveLimiterHint : 0
; COMPUTE_PGM_RSRC2:SCRATCH_EN: 0
; COMPUTE_PGM_RSRC2:USER_SGPR: 6
; COMPUTE_PGM_RSRC2:TRAP_HANDLER: 0
; COMPUTE_PGM_RSRC2:TGID_X_EN: 1
; COMPUTE_PGM_RSRC2:TGID_Y_EN: 0
; COMPUTE_PGM_RSRC2:TGID_Z_EN: 0
; COMPUTE_PGM_RSRC2:TIDIG_COMP_CNT: 0
; COMPUTE_PGM_RSRC3_GFX90A:ACCUM_OFFSET: 0
; COMPUTE_PGM_RSRC3_GFX90A:TG_SPLIT: 0
	.section	.text._ZN7rocprim17ROCPRIM_400000_NS6detail17trampoline_kernelINS0_14default_configENS1_27scan_by_key_config_selectorImiEEZZNS1_16scan_by_key_implILNS1_25lookback_scan_determinismE0ELb0ES3_N6thrust23THRUST_200600_302600_NS18transform_iteratorI9row_indexNS9_17counting_iteratorImNS9_11use_defaultESD_SD_EESD_SD_EENS9_6detail15normal_iteratorINS9_10device_ptrIiEEEESK_iNS9_4plusIvEENS9_8equal_toIvEEiEE10hipError_tPvRmT2_T3_T4_T5_mT6_T7_P12ihipStream_tbENKUlT_T0_E_clISt17integral_constantIbLb0EES14_IbLb1EEEEDaS10_S11_EUlS10_E_NS1_11comp_targetILNS1_3genE10ELNS1_11target_archE1200ELNS1_3gpuE4ELNS1_3repE0EEENS1_30default_config_static_selectorELNS0_4arch9wavefront6targetE1EEEvT1_,"axG",@progbits,_ZN7rocprim17ROCPRIM_400000_NS6detail17trampoline_kernelINS0_14default_configENS1_27scan_by_key_config_selectorImiEEZZNS1_16scan_by_key_implILNS1_25lookback_scan_determinismE0ELb0ES3_N6thrust23THRUST_200600_302600_NS18transform_iteratorI9row_indexNS9_17counting_iteratorImNS9_11use_defaultESD_SD_EESD_SD_EENS9_6detail15normal_iteratorINS9_10device_ptrIiEEEESK_iNS9_4plusIvEENS9_8equal_toIvEEiEE10hipError_tPvRmT2_T3_T4_T5_mT6_T7_P12ihipStream_tbENKUlT_T0_E_clISt17integral_constantIbLb0EES14_IbLb1EEEEDaS10_S11_EUlS10_E_NS1_11comp_targetILNS1_3genE10ELNS1_11target_archE1200ELNS1_3gpuE4ELNS1_3repE0EEENS1_30default_config_static_selectorELNS0_4arch9wavefront6targetE1EEEvT1_,comdat
	.protected	_ZN7rocprim17ROCPRIM_400000_NS6detail17trampoline_kernelINS0_14default_configENS1_27scan_by_key_config_selectorImiEEZZNS1_16scan_by_key_implILNS1_25lookback_scan_determinismE0ELb0ES3_N6thrust23THRUST_200600_302600_NS18transform_iteratorI9row_indexNS9_17counting_iteratorImNS9_11use_defaultESD_SD_EESD_SD_EENS9_6detail15normal_iteratorINS9_10device_ptrIiEEEESK_iNS9_4plusIvEENS9_8equal_toIvEEiEE10hipError_tPvRmT2_T3_T4_T5_mT6_T7_P12ihipStream_tbENKUlT_T0_E_clISt17integral_constantIbLb0EES14_IbLb1EEEEDaS10_S11_EUlS10_E_NS1_11comp_targetILNS1_3genE10ELNS1_11target_archE1200ELNS1_3gpuE4ELNS1_3repE0EEENS1_30default_config_static_selectorELNS0_4arch9wavefront6targetE1EEEvT1_ ; -- Begin function _ZN7rocprim17ROCPRIM_400000_NS6detail17trampoline_kernelINS0_14default_configENS1_27scan_by_key_config_selectorImiEEZZNS1_16scan_by_key_implILNS1_25lookback_scan_determinismE0ELb0ES3_N6thrust23THRUST_200600_302600_NS18transform_iteratorI9row_indexNS9_17counting_iteratorImNS9_11use_defaultESD_SD_EESD_SD_EENS9_6detail15normal_iteratorINS9_10device_ptrIiEEEESK_iNS9_4plusIvEENS9_8equal_toIvEEiEE10hipError_tPvRmT2_T3_T4_T5_mT6_T7_P12ihipStream_tbENKUlT_T0_E_clISt17integral_constantIbLb0EES14_IbLb1EEEEDaS10_S11_EUlS10_E_NS1_11comp_targetILNS1_3genE10ELNS1_11target_archE1200ELNS1_3gpuE4ELNS1_3repE0EEENS1_30default_config_static_selectorELNS0_4arch9wavefront6targetE1EEEvT1_
	.globl	_ZN7rocprim17ROCPRIM_400000_NS6detail17trampoline_kernelINS0_14default_configENS1_27scan_by_key_config_selectorImiEEZZNS1_16scan_by_key_implILNS1_25lookback_scan_determinismE0ELb0ES3_N6thrust23THRUST_200600_302600_NS18transform_iteratorI9row_indexNS9_17counting_iteratorImNS9_11use_defaultESD_SD_EESD_SD_EENS9_6detail15normal_iteratorINS9_10device_ptrIiEEEESK_iNS9_4plusIvEENS9_8equal_toIvEEiEE10hipError_tPvRmT2_T3_T4_T5_mT6_T7_P12ihipStream_tbENKUlT_T0_E_clISt17integral_constantIbLb0EES14_IbLb1EEEEDaS10_S11_EUlS10_E_NS1_11comp_targetILNS1_3genE10ELNS1_11target_archE1200ELNS1_3gpuE4ELNS1_3repE0EEENS1_30default_config_static_selectorELNS0_4arch9wavefront6targetE1EEEvT1_
	.p2align	8
	.type	_ZN7rocprim17ROCPRIM_400000_NS6detail17trampoline_kernelINS0_14default_configENS1_27scan_by_key_config_selectorImiEEZZNS1_16scan_by_key_implILNS1_25lookback_scan_determinismE0ELb0ES3_N6thrust23THRUST_200600_302600_NS18transform_iteratorI9row_indexNS9_17counting_iteratorImNS9_11use_defaultESD_SD_EESD_SD_EENS9_6detail15normal_iteratorINS9_10device_ptrIiEEEESK_iNS9_4plusIvEENS9_8equal_toIvEEiEE10hipError_tPvRmT2_T3_T4_T5_mT6_T7_P12ihipStream_tbENKUlT_T0_E_clISt17integral_constantIbLb0EES14_IbLb1EEEEDaS10_S11_EUlS10_E_NS1_11comp_targetILNS1_3genE10ELNS1_11target_archE1200ELNS1_3gpuE4ELNS1_3repE0EEENS1_30default_config_static_selectorELNS0_4arch9wavefront6targetE1EEEvT1_,@function
_ZN7rocprim17ROCPRIM_400000_NS6detail17trampoline_kernelINS0_14default_configENS1_27scan_by_key_config_selectorImiEEZZNS1_16scan_by_key_implILNS1_25lookback_scan_determinismE0ELb0ES3_N6thrust23THRUST_200600_302600_NS18transform_iteratorI9row_indexNS9_17counting_iteratorImNS9_11use_defaultESD_SD_EESD_SD_EENS9_6detail15normal_iteratorINS9_10device_ptrIiEEEESK_iNS9_4plusIvEENS9_8equal_toIvEEiEE10hipError_tPvRmT2_T3_T4_T5_mT6_T7_P12ihipStream_tbENKUlT_T0_E_clISt17integral_constantIbLb0EES14_IbLb1EEEEDaS10_S11_EUlS10_E_NS1_11comp_targetILNS1_3genE10ELNS1_11target_archE1200ELNS1_3gpuE4ELNS1_3repE0EEENS1_30default_config_static_selectorELNS0_4arch9wavefront6targetE1EEEvT1_: ; @_ZN7rocprim17ROCPRIM_400000_NS6detail17trampoline_kernelINS0_14default_configENS1_27scan_by_key_config_selectorImiEEZZNS1_16scan_by_key_implILNS1_25lookback_scan_determinismE0ELb0ES3_N6thrust23THRUST_200600_302600_NS18transform_iteratorI9row_indexNS9_17counting_iteratorImNS9_11use_defaultESD_SD_EESD_SD_EENS9_6detail15normal_iteratorINS9_10device_ptrIiEEEESK_iNS9_4plusIvEENS9_8equal_toIvEEiEE10hipError_tPvRmT2_T3_T4_T5_mT6_T7_P12ihipStream_tbENKUlT_T0_E_clISt17integral_constantIbLb0EES14_IbLb1EEEEDaS10_S11_EUlS10_E_NS1_11comp_targetILNS1_3genE10ELNS1_11target_archE1200ELNS1_3gpuE4ELNS1_3repE0EEENS1_30default_config_static_selectorELNS0_4arch9wavefront6targetE1EEEvT1_
; %bb.0:
	.section	.rodata,"a",@progbits
	.p2align	6, 0x0
	.amdhsa_kernel _ZN7rocprim17ROCPRIM_400000_NS6detail17trampoline_kernelINS0_14default_configENS1_27scan_by_key_config_selectorImiEEZZNS1_16scan_by_key_implILNS1_25lookback_scan_determinismE0ELb0ES3_N6thrust23THRUST_200600_302600_NS18transform_iteratorI9row_indexNS9_17counting_iteratorImNS9_11use_defaultESD_SD_EESD_SD_EENS9_6detail15normal_iteratorINS9_10device_ptrIiEEEESK_iNS9_4plusIvEENS9_8equal_toIvEEiEE10hipError_tPvRmT2_T3_T4_T5_mT6_T7_P12ihipStream_tbENKUlT_T0_E_clISt17integral_constantIbLb0EES14_IbLb1EEEEDaS10_S11_EUlS10_E_NS1_11comp_targetILNS1_3genE10ELNS1_11target_archE1200ELNS1_3gpuE4ELNS1_3repE0EEENS1_30default_config_static_selectorELNS0_4arch9wavefront6targetE1EEEvT1_
		.amdhsa_group_segment_fixed_size 0
		.amdhsa_private_segment_fixed_size 0
		.amdhsa_kernarg_size 120
		.amdhsa_user_sgpr_count 6
		.amdhsa_user_sgpr_private_segment_buffer 1
		.amdhsa_user_sgpr_dispatch_ptr 0
		.amdhsa_user_sgpr_queue_ptr 0
		.amdhsa_user_sgpr_kernarg_segment_ptr 1
		.amdhsa_user_sgpr_dispatch_id 0
		.amdhsa_user_sgpr_flat_scratch_init 0
		.amdhsa_user_sgpr_kernarg_preload_length 0
		.amdhsa_user_sgpr_kernarg_preload_offset 0
		.amdhsa_user_sgpr_private_segment_size 0
		.amdhsa_uses_dynamic_stack 0
		.amdhsa_system_sgpr_private_segment_wavefront_offset 0
		.amdhsa_system_sgpr_workgroup_id_x 1
		.amdhsa_system_sgpr_workgroup_id_y 0
		.amdhsa_system_sgpr_workgroup_id_z 0
		.amdhsa_system_sgpr_workgroup_info 0
		.amdhsa_system_vgpr_workitem_id 0
		.amdhsa_next_free_vgpr 1
		.amdhsa_next_free_sgpr 0
		.amdhsa_accum_offset 4
		.amdhsa_reserve_vcc 0
		.amdhsa_reserve_flat_scratch 0
		.amdhsa_float_round_mode_32 0
		.amdhsa_float_round_mode_16_64 0
		.amdhsa_float_denorm_mode_32 3
		.amdhsa_float_denorm_mode_16_64 3
		.amdhsa_dx10_clamp 1
		.amdhsa_ieee_mode 1
		.amdhsa_fp16_overflow 0
		.amdhsa_tg_split 0
		.amdhsa_exception_fp_ieee_invalid_op 0
		.amdhsa_exception_fp_denorm_src 0
		.amdhsa_exception_fp_ieee_div_zero 0
		.amdhsa_exception_fp_ieee_overflow 0
		.amdhsa_exception_fp_ieee_underflow 0
		.amdhsa_exception_fp_ieee_inexact 0
		.amdhsa_exception_int_div_zero 0
	.end_amdhsa_kernel
	.section	.text._ZN7rocprim17ROCPRIM_400000_NS6detail17trampoline_kernelINS0_14default_configENS1_27scan_by_key_config_selectorImiEEZZNS1_16scan_by_key_implILNS1_25lookback_scan_determinismE0ELb0ES3_N6thrust23THRUST_200600_302600_NS18transform_iteratorI9row_indexNS9_17counting_iteratorImNS9_11use_defaultESD_SD_EESD_SD_EENS9_6detail15normal_iteratorINS9_10device_ptrIiEEEESK_iNS9_4plusIvEENS9_8equal_toIvEEiEE10hipError_tPvRmT2_T3_T4_T5_mT6_T7_P12ihipStream_tbENKUlT_T0_E_clISt17integral_constantIbLb0EES14_IbLb1EEEEDaS10_S11_EUlS10_E_NS1_11comp_targetILNS1_3genE10ELNS1_11target_archE1200ELNS1_3gpuE4ELNS1_3repE0EEENS1_30default_config_static_selectorELNS0_4arch9wavefront6targetE1EEEvT1_,"axG",@progbits,_ZN7rocprim17ROCPRIM_400000_NS6detail17trampoline_kernelINS0_14default_configENS1_27scan_by_key_config_selectorImiEEZZNS1_16scan_by_key_implILNS1_25lookback_scan_determinismE0ELb0ES3_N6thrust23THRUST_200600_302600_NS18transform_iteratorI9row_indexNS9_17counting_iteratorImNS9_11use_defaultESD_SD_EESD_SD_EENS9_6detail15normal_iteratorINS9_10device_ptrIiEEEESK_iNS9_4plusIvEENS9_8equal_toIvEEiEE10hipError_tPvRmT2_T3_T4_T5_mT6_T7_P12ihipStream_tbENKUlT_T0_E_clISt17integral_constantIbLb0EES14_IbLb1EEEEDaS10_S11_EUlS10_E_NS1_11comp_targetILNS1_3genE10ELNS1_11target_archE1200ELNS1_3gpuE4ELNS1_3repE0EEENS1_30default_config_static_selectorELNS0_4arch9wavefront6targetE1EEEvT1_,comdat
.Lfunc_end42:
	.size	_ZN7rocprim17ROCPRIM_400000_NS6detail17trampoline_kernelINS0_14default_configENS1_27scan_by_key_config_selectorImiEEZZNS1_16scan_by_key_implILNS1_25lookback_scan_determinismE0ELb0ES3_N6thrust23THRUST_200600_302600_NS18transform_iteratorI9row_indexNS9_17counting_iteratorImNS9_11use_defaultESD_SD_EESD_SD_EENS9_6detail15normal_iteratorINS9_10device_ptrIiEEEESK_iNS9_4plusIvEENS9_8equal_toIvEEiEE10hipError_tPvRmT2_T3_T4_T5_mT6_T7_P12ihipStream_tbENKUlT_T0_E_clISt17integral_constantIbLb0EES14_IbLb1EEEEDaS10_S11_EUlS10_E_NS1_11comp_targetILNS1_3genE10ELNS1_11target_archE1200ELNS1_3gpuE4ELNS1_3repE0EEENS1_30default_config_static_selectorELNS0_4arch9wavefront6targetE1EEEvT1_, .Lfunc_end42-_ZN7rocprim17ROCPRIM_400000_NS6detail17trampoline_kernelINS0_14default_configENS1_27scan_by_key_config_selectorImiEEZZNS1_16scan_by_key_implILNS1_25lookback_scan_determinismE0ELb0ES3_N6thrust23THRUST_200600_302600_NS18transform_iteratorI9row_indexNS9_17counting_iteratorImNS9_11use_defaultESD_SD_EESD_SD_EENS9_6detail15normal_iteratorINS9_10device_ptrIiEEEESK_iNS9_4plusIvEENS9_8equal_toIvEEiEE10hipError_tPvRmT2_T3_T4_T5_mT6_T7_P12ihipStream_tbENKUlT_T0_E_clISt17integral_constantIbLb0EES14_IbLb1EEEEDaS10_S11_EUlS10_E_NS1_11comp_targetILNS1_3genE10ELNS1_11target_archE1200ELNS1_3gpuE4ELNS1_3repE0EEENS1_30default_config_static_selectorELNS0_4arch9wavefront6targetE1EEEvT1_
                                        ; -- End function
	.section	.AMDGPU.csdata,"",@progbits
; Kernel info:
; codeLenInByte = 0
; NumSgprs: 4
; NumVgprs: 0
; NumAgprs: 0
; TotalNumVgprs: 0
; ScratchSize: 0
; MemoryBound: 0
; FloatMode: 240
; IeeeMode: 1
; LDSByteSize: 0 bytes/workgroup (compile time only)
; SGPRBlocks: 0
; VGPRBlocks: 0
; NumSGPRsForWavesPerEU: 4
; NumVGPRsForWavesPerEU: 1
; AccumOffset: 4
; Occupancy: 8
; WaveLimiterHint : 0
; COMPUTE_PGM_RSRC2:SCRATCH_EN: 0
; COMPUTE_PGM_RSRC2:USER_SGPR: 6
; COMPUTE_PGM_RSRC2:TRAP_HANDLER: 0
; COMPUTE_PGM_RSRC2:TGID_X_EN: 1
; COMPUTE_PGM_RSRC2:TGID_Y_EN: 0
; COMPUTE_PGM_RSRC2:TGID_Z_EN: 0
; COMPUTE_PGM_RSRC2:TIDIG_COMP_CNT: 0
; COMPUTE_PGM_RSRC3_GFX90A:ACCUM_OFFSET: 0
; COMPUTE_PGM_RSRC3_GFX90A:TG_SPLIT: 0
	.section	.text._ZN7rocprim17ROCPRIM_400000_NS6detail17trampoline_kernelINS0_14default_configENS1_27scan_by_key_config_selectorImiEEZZNS1_16scan_by_key_implILNS1_25lookback_scan_determinismE0ELb0ES3_N6thrust23THRUST_200600_302600_NS18transform_iteratorI9row_indexNS9_17counting_iteratorImNS9_11use_defaultESD_SD_EESD_SD_EENS9_6detail15normal_iteratorINS9_10device_ptrIiEEEESK_iNS9_4plusIvEENS9_8equal_toIvEEiEE10hipError_tPvRmT2_T3_T4_T5_mT6_T7_P12ihipStream_tbENKUlT_T0_E_clISt17integral_constantIbLb0EES14_IbLb1EEEEDaS10_S11_EUlS10_E_NS1_11comp_targetILNS1_3genE9ELNS1_11target_archE1100ELNS1_3gpuE3ELNS1_3repE0EEENS1_30default_config_static_selectorELNS0_4arch9wavefront6targetE1EEEvT1_,"axG",@progbits,_ZN7rocprim17ROCPRIM_400000_NS6detail17trampoline_kernelINS0_14default_configENS1_27scan_by_key_config_selectorImiEEZZNS1_16scan_by_key_implILNS1_25lookback_scan_determinismE0ELb0ES3_N6thrust23THRUST_200600_302600_NS18transform_iteratorI9row_indexNS9_17counting_iteratorImNS9_11use_defaultESD_SD_EESD_SD_EENS9_6detail15normal_iteratorINS9_10device_ptrIiEEEESK_iNS9_4plusIvEENS9_8equal_toIvEEiEE10hipError_tPvRmT2_T3_T4_T5_mT6_T7_P12ihipStream_tbENKUlT_T0_E_clISt17integral_constantIbLb0EES14_IbLb1EEEEDaS10_S11_EUlS10_E_NS1_11comp_targetILNS1_3genE9ELNS1_11target_archE1100ELNS1_3gpuE3ELNS1_3repE0EEENS1_30default_config_static_selectorELNS0_4arch9wavefront6targetE1EEEvT1_,comdat
	.protected	_ZN7rocprim17ROCPRIM_400000_NS6detail17trampoline_kernelINS0_14default_configENS1_27scan_by_key_config_selectorImiEEZZNS1_16scan_by_key_implILNS1_25lookback_scan_determinismE0ELb0ES3_N6thrust23THRUST_200600_302600_NS18transform_iteratorI9row_indexNS9_17counting_iteratorImNS9_11use_defaultESD_SD_EESD_SD_EENS9_6detail15normal_iteratorINS9_10device_ptrIiEEEESK_iNS9_4plusIvEENS9_8equal_toIvEEiEE10hipError_tPvRmT2_T3_T4_T5_mT6_T7_P12ihipStream_tbENKUlT_T0_E_clISt17integral_constantIbLb0EES14_IbLb1EEEEDaS10_S11_EUlS10_E_NS1_11comp_targetILNS1_3genE9ELNS1_11target_archE1100ELNS1_3gpuE3ELNS1_3repE0EEENS1_30default_config_static_selectorELNS0_4arch9wavefront6targetE1EEEvT1_ ; -- Begin function _ZN7rocprim17ROCPRIM_400000_NS6detail17trampoline_kernelINS0_14default_configENS1_27scan_by_key_config_selectorImiEEZZNS1_16scan_by_key_implILNS1_25lookback_scan_determinismE0ELb0ES3_N6thrust23THRUST_200600_302600_NS18transform_iteratorI9row_indexNS9_17counting_iteratorImNS9_11use_defaultESD_SD_EESD_SD_EENS9_6detail15normal_iteratorINS9_10device_ptrIiEEEESK_iNS9_4plusIvEENS9_8equal_toIvEEiEE10hipError_tPvRmT2_T3_T4_T5_mT6_T7_P12ihipStream_tbENKUlT_T0_E_clISt17integral_constantIbLb0EES14_IbLb1EEEEDaS10_S11_EUlS10_E_NS1_11comp_targetILNS1_3genE9ELNS1_11target_archE1100ELNS1_3gpuE3ELNS1_3repE0EEENS1_30default_config_static_selectorELNS0_4arch9wavefront6targetE1EEEvT1_
	.globl	_ZN7rocprim17ROCPRIM_400000_NS6detail17trampoline_kernelINS0_14default_configENS1_27scan_by_key_config_selectorImiEEZZNS1_16scan_by_key_implILNS1_25lookback_scan_determinismE0ELb0ES3_N6thrust23THRUST_200600_302600_NS18transform_iteratorI9row_indexNS9_17counting_iteratorImNS9_11use_defaultESD_SD_EESD_SD_EENS9_6detail15normal_iteratorINS9_10device_ptrIiEEEESK_iNS9_4plusIvEENS9_8equal_toIvEEiEE10hipError_tPvRmT2_T3_T4_T5_mT6_T7_P12ihipStream_tbENKUlT_T0_E_clISt17integral_constantIbLb0EES14_IbLb1EEEEDaS10_S11_EUlS10_E_NS1_11comp_targetILNS1_3genE9ELNS1_11target_archE1100ELNS1_3gpuE3ELNS1_3repE0EEENS1_30default_config_static_selectorELNS0_4arch9wavefront6targetE1EEEvT1_
	.p2align	8
	.type	_ZN7rocprim17ROCPRIM_400000_NS6detail17trampoline_kernelINS0_14default_configENS1_27scan_by_key_config_selectorImiEEZZNS1_16scan_by_key_implILNS1_25lookback_scan_determinismE0ELb0ES3_N6thrust23THRUST_200600_302600_NS18transform_iteratorI9row_indexNS9_17counting_iteratorImNS9_11use_defaultESD_SD_EESD_SD_EENS9_6detail15normal_iteratorINS9_10device_ptrIiEEEESK_iNS9_4plusIvEENS9_8equal_toIvEEiEE10hipError_tPvRmT2_T3_T4_T5_mT6_T7_P12ihipStream_tbENKUlT_T0_E_clISt17integral_constantIbLb0EES14_IbLb1EEEEDaS10_S11_EUlS10_E_NS1_11comp_targetILNS1_3genE9ELNS1_11target_archE1100ELNS1_3gpuE3ELNS1_3repE0EEENS1_30default_config_static_selectorELNS0_4arch9wavefront6targetE1EEEvT1_,@function
_ZN7rocprim17ROCPRIM_400000_NS6detail17trampoline_kernelINS0_14default_configENS1_27scan_by_key_config_selectorImiEEZZNS1_16scan_by_key_implILNS1_25lookback_scan_determinismE0ELb0ES3_N6thrust23THRUST_200600_302600_NS18transform_iteratorI9row_indexNS9_17counting_iteratorImNS9_11use_defaultESD_SD_EESD_SD_EENS9_6detail15normal_iteratorINS9_10device_ptrIiEEEESK_iNS9_4plusIvEENS9_8equal_toIvEEiEE10hipError_tPvRmT2_T3_T4_T5_mT6_T7_P12ihipStream_tbENKUlT_T0_E_clISt17integral_constantIbLb0EES14_IbLb1EEEEDaS10_S11_EUlS10_E_NS1_11comp_targetILNS1_3genE9ELNS1_11target_archE1100ELNS1_3gpuE3ELNS1_3repE0EEENS1_30default_config_static_selectorELNS0_4arch9wavefront6targetE1EEEvT1_: ; @_ZN7rocprim17ROCPRIM_400000_NS6detail17trampoline_kernelINS0_14default_configENS1_27scan_by_key_config_selectorImiEEZZNS1_16scan_by_key_implILNS1_25lookback_scan_determinismE0ELb0ES3_N6thrust23THRUST_200600_302600_NS18transform_iteratorI9row_indexNS9_17counting_iteratorImNS9_11use_defaultESD_SD_EESD_SD_EENS9_6detail15normal_iteratorINS9_10device_ptrIiEEEESK_iNS9_4plusIvEENS9_8equal_toIvEEiEE10hipError_tPvRmT2_T3_T4_T5_mT6_T7_P12ihipStream_tbENKUlT_T0_E_clISt17integral_constantIbLb0EES14_IbLb1EEEEDaS10_S11_EUlS10_E_NS1_11comp_targetILNS1_3genE9ELNS1_11target_archE1100ELNS1_3gpuE3ELNS1_3repE0EEENS1_30default_config_static_selectorELNS0_4arch9wavefront6targetE1EEEvT1_
; %bb.0:
	.section	.rodata,"a",@progbits
	.p2align	6, 0x0
	.amdhsa_kernel _ZN7rocprim17ROCPRIM_400000_NS6detail17trampoline_kernelINS0_14default_configENS1_27scan_by_key_config_selectorImiEEZZNS1_16scan_by_key_implILNS1_25lookback_scan_determinismE0ELb0ES3_N6thrust23THRUST_200600_302600_NS18transform_iteratorI9row_indexNS9_17counting_iteratorImNS9_11use_defaultESD_SD_EESD_SD_EENS9_6detail15normal_iteratorINS9_10device_ptrIiEEEESK_iNS9_4plusIvEENS9_8equal_toIvEEiEE10hipError_tPvRmT2_T3_T4_T5_mT6_T7_P12ihipStream_tbENKUlT_T0_E_clISt17integral_constantIbLb0EES14_IbLb1EEEEDaS10_S11_EUlS10_E_NS1_11comp_targetILNS1_3genE9ELNS1_11target_archE1100ELNS1_3gpuE3ELNS1_3repE0EEENS1_30default_config_static_selectorELNS0_4arch9wavefront6targetE1EEEvT1_
		.amdhsa_group_segment_fixed_size 0
		.amdhsa_private_segment_fixed_size 0
		.amdhsa_kernarg_size 120
		.amdhsa_user_sgpr_count 6
		.amdhsa_user_sgpr_private_segment_buffer 1
		.amdhsa_user_sgpr_dispatch_ptr 0
		.amdhsa_user_sgpr_queue_ptr 0
		.amdhsa_user_sgpr_kernarg_segment_ptr 1
		.amdhsa_user_sgpr_dispatch_id 0
		.amdhsa_user_sgpr_flat_scratch_init 0
		.amdhsa_user_sgpr_kernarg_preload_length 0
		.amdhsa_user_sgpr_kernarg_preload_offset 0
		.amdhsa_user_sgpr_private_segment_size 0
		.amdhsa_uses_dynamic_stack 0
		.amdhsa_system_sgpr_private_segment_wavefront_offset 0
		.amdhsa_system_sgpr_workgroup_id_x 1
		.amdhsa_system_sgpr_workgroup_id_y 0
		.amdhsa_system_sgpr_workgroup_id_z 0
		.amdhsa_system_sgpr_workgroup_info 0
		.amdhsa_system_vgpr_workitem_id 0
		.amdhsa_next_free_vgpr 1
		.amdhsa_next_free_sgpr 0
		.amdhsa_accum_offset 4
		.amdhsa_reserve_vcc 0
		.amdhsa_reserve_flat_scratch 0
		.amdhsa_float_round_mode_32 0
		.amdhsa_float_round_mode_16_64 0
		.amdhsa_float_denorm_mode_32 3
		.amdhsa_float_denorm_mode_16_64 3
		.amdhsa_dx10_clamp 1
		.amdhsa_ieee_mode 1
		.amdhsa_fp16_overflow 0
		.amdhsa_tg_split 0
		.amdhsa_exception_fp_ieee_invalid_op 0
		.amdhsa_exception_fp_denorm_src 0
		.amdhsa_exception_fp_ieee_div_zero 0
		.amdhsa_exception_fp_ieee_overflow 0
		.amdhsa_exception_fp_ieee_underflow 0
		.amdhsa_exception_fp_ieee_inexact 0
		.amdhsa_exception_int_div_zero 0
	.end_amdhsa_kernel
	.section	.text._ZN7rocprim17ROCPRIM_400000_NS6detail17trampoline_kernelINS0_14default_configENS1_27scan_by_key_config_selectorImiEEZZNS1_16scan_by_key_implILNS1_25lookback_scan_determinismE0ELb0ES3_N6thrust23THRUST_200600_302600_NS18transform_iteratorI9row_indexNS9_17counting_iteratorImNS9_11use_defaultESD_SD_EESD_SD_EENS9_6detail15normal_iteratorINS9_10device_ptrIiEEEESK_iNS9_4plusIvEENS9_8equal_toIvEEiEE10hipError_tPvRmT2_T3_T4_T5_mT6_T7_P12ihipStream_tbENKUlT_T0_E_clISt17integral_constantIbLb0EES14_IbLb1EEEEDaS10_S11_EUlS10_E_NS1_11comp_targetILNS1_3genE9ELNS1_11target_archE1100ELNS1_3gpuE3ELNS1_3repE0EEENS1_30default_config_static_selectorELNS0_4arch9wavefront6targetE1EEEvT1_,"axG",@progbits,_ZN7rocprim17ROCPRIM_400000_NS6detail17trampoline_kernelINS0_14default_configENS1_27scan_by_key_config_selectorImiEEZZNS1_16scan_by_key_implILNS1_25lookback_scan_determinismE0ELb0ES3_N6thrust23THRUST_200600_302600_NS18transform_iteratorI9row_indexNS9_17counting_iteratorImNS9_11use_defaultESD_SD_EESD_SD_EENS9_6detail15normal_iteratorINS9_10device_ptrIiEEEESK_iNS9_4plusIvEENS9_8equal_toIvEEiEE10hipError_tPvRmT2_T3_T4_T5_mT6_T7_P12ihipStream_tbENKUlT_T0_E_clISt17integral_constantIbLb0EES14_IbLb1EEEEDaS10_S11_EUlS10_E_NS1_11comp_targetILNS1_3genE9ELNS1_11target_archE1100ELNS1_3gpuE3ELNS1_3repE0EEENS1_30default_config_static_selectorELNS0_4arch9wavefront6targetE1EEEvT1_,comdat
.Lfunc_end43:
	.size	_ZN7rocprim17ROCPRIM_400000_NS6detail17trampoline_kernelINS0_14default_configENS1_27scan_by_key_config_selectorImiEEZZNS1_16scan_by_key_implILNS1_25lookback_scan_determinismE0ELb0ES3_N6thrust23THRUST_200600_302600_NS18transform_iteratorI9row_indexNS9_17counting_iteratorImNS9_11use_defaultESD_SD_EESD_SD_EENS9_6detail15normal_iteratorINS9_10device_ptrIiEEEESK_iNS9_4plusIvEENS9_8equal_toIvEEiEE10hipError_tPvRmT2_T3_T4_T5_mT6_T7_P12ihipStream_tbENKUlT_T0_E_clISt17integral_constantIbLb0EES14_IbLb1EEEEDaS10_S11_EUlS10_E_NS1_11comp_targetILNS1_3genE9ELNS1_11target_archE1100ELNS1_3gpuE3ELNS1_3repE0EEENS1_30default_config_static_selectorELNS0_4arch9wavefront6targetE1EEEvT1_, .Lfunc_end43-_ZN7rocprim17ROCPRIM_400000_NS6detail17trampoline_kernelINS0_14default_configENS1_27scan_by_key_config_selectorImiEEZZNS1_16scan_by_key_implILNS1_25lookback_scan_determinismE0ELb0ES3_N6thrust23THRUST_200600_302600_NS18transform_iteratorI9row_indexNS9_17counting_iteratorImNS9_11use_defaultESD_SD_EESD_SD_EENS9_6detail15normal_iteratorINS9_10device_ptrIiEEEESK_iNS9_4plusIvEENS9_8equal_toIvEEiEE10hipError_tPvRmT2_T3_T4_T5_mT6_T7_P12ihipStream_tbENKUlT_T0_E_clISt17integral_constantIbLb0EES14_IbLb1EEEEDaS10_S11_EUlS10_E_NS1_11comp_targetILNS1_3genE9ELNS1_11target_archE1100ELNS1_3gpuE3ELNS1_3repE0EEENS1_30default_config_static_selectorELNS0_4arch9wavefront6targetE1EEEvT1_
                                        ; -- End function
	.section	.AMDGPU.csdata,"",@progbits
; Kernel info:
; codeLenInByte = 0
; NumSgprs: 4
; NumVgprs: 0
; NumAgprs: 0
; TotalNumVgprs: 0
; ScratchSize: 0
; MemoryBound: 0
; FloatMode: 240
; IeeeMode: 1
; LDSByteSize: 0 bytes/workgroup (compile time only)
; SGPRBlocks: 0
; VGPRBlocks: 0
; NumSGPRsForWavesPerEU: 4
; NumVGPRsForWavesPerEU: 1
; AccumOffset: 4
; Occupancy: 8
; WaveLimiterHint : 0
; COMPUTE_PGM_RSRC2:SCRATCH_EN: 0
; COMPUTE_PGM_RSRC2:USER_SGPR: 6
; COMPUTE_PGM_RSRC2:TRAP_HANDLER: 0
; COMPUTE_PGM_RSRC2:TGID_X_EN: 1
; COMPUTE_PGM_RSRC2:TGID_Y_EN: 0
; COMPUTE_PGM_RSRC2:TGID_Z_EN: 0
; COMPUTE_PGM_RSRC2:TIDIG_COMP_CNT: 0
; COMPUTE_PGM_RSRC3_GFX90A:ACCUM_OFFSET: 0
; COMPUTE_PGM_RSRC3_GFX90A:TG_SPLIT: 0
	.section	.text._ZN7rocprim17ROCPRIM_400000_NS6detail17trampoline_kernelINS0_14default_configENS1_27scan_by_key_config_selectorImiEEZZNS1_16scan_by_key_implILNS1_25lookback_scan_determinismE0ELb0ES3_N6thrust23THRUST_200600_302600_NS18transform_iteratorI9row_indexNS9_17counting_iteratorImNS9_11use_defaultESD_SD_EESD_SD_EENS9_6detail15normal_iteratorINS9_10device_ptrIiEEEESK_iNS9_4plusIvEENS9_8equal_toIvEEiEE10hipError_tPvRmT2_T3_T4_T5_mT6_T7_P12ihipStream_tbENKUlT_T0_E_clISt17integral_constantIbLb0EES14_IbLb1EEEEDaS10_S11_EUlS10_E_NS1_11comp_targetILNS1_3genE8ELNS1_11target_archE1030ELNS1_3gpuE2ELNS1_3repE0EEENS1_30default_config_static_selectorELNS0_4arch9wavefront6targetE1EEEvT1_,"axG",@progbits,_ZN7rocprim17ROCPRIM_400000_NS6detail17trampoline_kernelINS0_14default_configENS1_27scan_by_key_config_selectorImiEEZZNS1_16scan_by_key_implILNS1_25lookback_scan_determinismE0ELb0ES3_N6thrust23THRUST_200600_302600_NS18transform_iteratorI9row_indexNS9_17counting_iteratorImNS9_11use_defaultESD_SD_EESD_SD_EENS9_6detail15normal_iteratorINS9_10device_ptrIiEEEESK_iNS9_4plusIvEENS9_8equal_toIvEEiEE10hipError_tPvRmT2_T3_T4_T5_mT6_T7_P12ihipStream_tbENKUlT_T0_E_clISt17integral_constantIbLb0EES14_IbLb1EEEEDaS10_S11_EUlS10_E_NS1_11comp_targetILNS1_3genE8ELNS1_11target_archE1030ELNS1_3gpuE2ELNS1_3repE0EEENS1_30default_config_static_selectorELNS0_4arch9wavefront6targetE1EEEvT1_,comdat
	.protected	_ZN7rocprim17ROCPRIM_400000_NS6detail17trampoline_kernelINS0_14default_configENS1_27scan_by_key_config_selectorImiEEZZNS1_16scan_by_key_implILNS1_25lookback_scan_determinismE0ELb0ES3_N6thrust23THRUST_200600_302600_NS18transform_iteratorI9row_indexNS9_17counting_iteratorImNS9_11use_defaultESD_SD_EESD_SD_EENS9_6detail15normal_iteratorINS9_10device_ptrIiEEEESK_iNS9_4plusIvEENS9_8equal_toIvEEiEE10hipError_tPvRmT2_T3_T4_T5_mT6_T7_P12ihipStream_tbENKUlT_T0_E_clISt17integral_constantIbLb0EES14_IbLb1EEEEDaS10_S11_EUlS10_E_NS1_11comp_targetILNS1_3genE8ELNS1_11target_archE1030ELNS1_3gpuE2ELNS1_3repE0EEENS1_30default_config_static_selectorELNS0_4arch9wavefront6targetE1EEEvT1_ ; -- Begin function _ZN7rocprim17ROCPRIM_400000_NS6detail17trampoline_kernelINS0_14default_configENS1_27scan_by_key_config_selectorImiEEZZNS1_16scan_by_key_implILNS1_25lookback_scan_determinismE0ELb0ES3_N6thrust23THRUST_200600_302600_NS18transform_iteratorI9row_indexNS9_17counting_iteratorImNS9_11use_defaultESD_SD_EESD_SD_EENS9_6detail15normal_iteratorINS9_10device_ptrIiEEEESK_iNS9_4plusIvEENS9_8equal_toIvEEiEE10hipError_tPvRmT2_T3_T4_T5_mT6_T7_P12ihipStream_tbENKUlT_T0_E_clISt17integral_constantIbLb0EES14_IbLb1EEEEDaS10_S11_EUlS10_E_NS1_11comp_targetILNS1_3genE8ELNS1_11target_archE1030ELNS1_3gpuE2ELNS1_3repE0EEENS1_30default_config_static_selectorELNS0_4arch9wavefront6targetE1EEEvT1_
	.globl	_ZN7rocprim17ROCPRIM_400000_NS6detail17trampoline_kernelINS0_14default_configENS1_27scan_by_key_config_selectorImiEEZZNS1_16scan_by_key_implILNS1_25lookback_scan_determinismE0ELb0ES3_N6thrust23THRUST_200600_302600_NS18transform_iteratorI9row_indexNS9_17counting_iteratorImNS9_11use_defaultESD_SD_EESD_SD_EENS9_6detail15normal_iteratorINS9_10device_ptrIiEEEESK_iNS9_4plusIvEENS9_8equal_toIvEEiEE10hipError_tPvRmT2_T3_T4_T5_mT6_T7_P12ihipStream_tbENKUlT_T0_E_clISt17integral_constantIbLb0EES14_IbLb1EEEEDaS10_S11_EUlS10_E_NS1_11comp_targetILNS1_3genE8ELNS1_11target_archE1030ELNS1_3gpuE2ELNS1_3repE0EEENS1_30default_config_static_selectorELNS0_4arch9wavefront6targetE1EEEvT1_
	.p2align	8
	.type	_ZN7rocprim17ROCPRIM_400000_NS6detail17trampoline_kernelINS0_14default_configENS1_27scan_by_key_config_selectorImiEEZZNS1_16scan_by_key_implILNS1_25lookback_scan_determinismE0ELb0ES3_N6thrust23THRUST_200600_302600_NS18transform_iteratorI9row_indexNS9_17counting_iteratorImNS9_11use_defaultESD_SD_EESD_SD_EENS9_6detail15normal_iteratorINS9_10device_ptrIiEEEESK_iNS9_4plusIvEENS9_8equal_toIvEEiEE10hipError_tPvRmT2_T3_T4_T5_mT6_T7_P12ihipStream_tbENKUlT_T0_E_clISt17integral_constantIbLb0EES14_IbLb1EEEEDaS10_S11_EUlS10_E_NS1_11comp_targetILNS1_3genE8ELNS1_11target_archE1030ELNS1_3gpuE2ELNS1_3repE0EEENS1_30default_config_static_selectorELNS0_4arch9wavefront6targetE1EEEvT1_,@function
_ZN7rocprim17ROCPRIM_400000_NS6detail17trampoline_kernelINS0_14default_configENS1_27scan_by_key_config_selectorImiEEZZNS1_16scan_by_key_implILNS1_25lookback_scan_determinismE0ELb0ES3_N6thrust23THRUST_200600_302600_NS18transform_iteratorI9row_indexNS9_17counting_iteratorImNS9_11use_defaultESD_SD_EESD_SD_EENS9_6detail15normal_iteratorINS9_10device_ptrIiEEEESK_iNS9_4plusIvEENS9_8equal_toIvEEiEE10hipError_tPvRmT2_T3_T4_T5_mT6_T7_P12ihipStream_tbENKUlT_T0_E_clISt17integral_constantIbLb0EES14_IbLb1EEEEDaS10_S11_EUlS10_E_NS1_11comp_targetILNS1_3genE8ELNS1_11target_archE1030ELNS1_3gpuE2ELNS1_3repE0EEENS1_30default_config_static_selectorELNS0_4arch9wavefront6targetE1EEEvT1_: ; @_ZN7rocprim17ROCPRIM_400000_NS6detail17trampoline_kernelINS0_14default_configENS1_27scan_by_key_config_selectorImiEEZZNS1_16scan_by_key_implILNS1_25lookback_scan_determinismE0ELb0ES3_N6thrust23THRUST_200600_302600_NS18transform_iteratorI9row_indexNS9_17counting_iteratorImNS9_11use_defaultESD_SD_EESD_SD_EENS9_6detail15normal_iteratorINS9_10device_ptrIiEEEESK_iNS9_4plusIvEENS9_8equal_toIvEEiEE10hipError_tPvRmT2_T3_T4_T5_mT6_T7_P12ihipStream_tbENKUlT_T0_E_clISt17integral_constantIbLb0EES14_IbLb1EEEEDaS10_S11_EUlS10_E_NS1_11comp_targetILNS1_3genE8ELNS1_11target_archE1030ELNS1_3gpuE2ELNS1_3repE0EEENS1_30default_config_static_selectorELNS0_4arch9wavefront6targetE1EEEvT1_
; %bb.0:
	.section	.rodata,"a",@progbits
	.p2align	6, 0x0
	.amdhsa_kernel _ZN7rocprim17ROCPRIM_400000_NS6detail17trampoline_kernelINS0_14default_configENS1_27scan_by_key_config_selectorImiEEZZNS1_16scan_by_key_implILNS1_25lookback_scan_determinismE0ELb0ES3_N6thrust23THRUST_200600_302600_NS18transform_iteratorI9row_indexNS9_17counting_iteratorImNS9_11use_defaultESD_SD_EESD_SD_EENS9_6detail15normal_iteratorINS9_10device_ptrIiEEEESK_iNS9_4plusIvEENS9_8equal_toIvEEiEE10hipError_tPvRmT2_T3_T4_T5_mT6_T7_P12ihipStream_tbENKUlT_T0_E_clISt17integral_constantIbLb0EES14_IbLb1EEEEDaS10_S11_EUlS10_E_NS1_11comp_targetILNS1_3genE8ELNS1_11target_archE1030ELNS1_3gpuE2ELNS1_3repE0EEENS1_30default_config_static_selectorELNS0_4arch9wavefront6targetE1EEEvT1_
		.amdhsa_group_segment_fixed_size 0
		.amdhsa_private_segment_fixed_size 0
		.amdhsa_kernarg_size 120
		.amdhsa_user_sgpr_count 6
		.amdhsa_user_sgpr_private_segment_buffer 1
		.amdhsa_user_sgpr_dispatch_ptr 0
		.amdhsa_user_sgpr_queue_ptr 0
		.amdhsa_user_sgpr_kernarg_segment_ptr 1
		.amdhsa_user_sgpr_dispatch_id 0
		.amdhsa_user_sgpr_flat_scratch_init 0
		.amdhsa_user_sgpr_kernarg_preload_length 0
		.amdhsa_user_sgpr_kernarg_preload_offset 0
		.amdhsa_user_sgpr_private_segment_size 0
		.amdhsa_uses_dynamic_stack 0
		.amdhsa_system_sgpr_private_segment_wavefront_offset 0
		.amdhsa_system_sgpr_workgroup_id_x 1
		.amdhsa_system_sgpr_workgroup_id_y 0
		.amdhsa_system_sgpr_workgroup_id_z 0
		.amdhsa_system_sgpr_workgroup_info 0
		.amdhsa_system_vgpr_workitem_id 0
		.amdhsa_next_free_vgpr 1
		.amdhsa_next_free_sgpr 0
		.amdhsa_accum_offset 4
		.amdhsa_reserve_vcc 0
		.amdhsa_reserve_flat_scratch 0
		.amdhsa_float_round_mode_32 0
		.amdhsa_float_round_mode_16_64 0
		.amdhsa_float_denorm_mode_32 3
		.amdhsa_float_denorm_mode_16_64 3
		.amdhsa_dx10_clamp 1
		.amdhsa_ieee_mode 1
		.amdhsa_fp16_overflow 0
		.amdhsa_tg_split 0
		.amdhsa_exception_fp_ieee_invalid_op 0
		.amdhsa_exception_fp_denorm_src 0
		.amdhsa_exception_fp_ieee_div_zero 0
		.amdhsa_exception_fp_ieee_overflow 0
		.amdhsa_exception_fp_ieee_underflow 0
		.amdhsa_exception_fp_ieee_inexact 0
		.amdhsa_exception_int_div_zero 0
	.end_amdhsa_kernel
	.section	.text._ZN7rocprim17ROCPRIM_400000_NS6detail17trampoline_kernelINS0_14default_configENS1_27scan_by_key_config_selectorImiEEZZNS1_16scan_by_key_implILNS1_25lookback_scan_determinismE0ELb0ES3_N6thrust23THRUST_200600_302600_NS18transform_iteratorI9row_indexNS9_17counting_iteratorImNS9_11use_defaultESD_SD_EESD_SD_EENS9_6detail15normal_iteratorINS9_10device_ptrIiEEEESK_iNS9_4plusIvEENS9_8equal_toIvEEiEE10hipError_tPvRmT2_T3_T4_T5_mT6_T7_P12ihipStream_tbENKUlT_T0_E_clISt17integral_constantIbLb0EES14_IbLb1EEEEDaS10_S11_EUlS10_E_NS1_11comp_targetILNS1_3genE8ELNS1_11target_archE1030ELNS1_3gpuE2ELNS1_3repE0EEENS1_30default_config_static_selectorELNS0_4arch9wavefront6targetE1EEEvT1_,"axG",@progbits,_ZN7rocprim17ROCPRIM_400000_NS6detail17trampoline_kernelINS0_14default_configENS1_27scan_by_key_config_selectorImiEEZZNS1_16scan_by_key_implILNS1_25lookback_scan_determinismE0ELb0ES3_N6thrust23THRUST_200600_302600_NS18transform_iteratorI9row_indexNS9_17counting_iteratorImNS9_11use_defaultESD_SD_EESD_SD_EENS9_6detail15normal_iteratorINS9_10device_ptrIiEEEESK_iNS9_4plusIvEENS9_8equal_toIvEEiEE10hipError_tPvRmT2_T3_T4_T5_mT6_T7_P12ihipStream_tbENKUlT_T0_E_clISt17integral_constantIbLb0EES14_IbLb1EEEEDaS10_S11_EUlS10_E_NS1_11comp_targetILNS1_3genE8ELNS1_11target_archE1030ELNS1_3gpuE2ELNS1_3repE0EEENS1_30default_config_static_selectorELNS0_4arch9wavefront6targetE1EEEvT1_,comdat
.Lfunc_end44:
	.size	_ZN7rocprim17ROCPRIM_400000_NS6detail17trampoline_kernelINS0_14default_configENS1_27scan_by_key_config_selectorImiEEZZNS1_16scan_by_key_implILNS1_25lookback_scan_determinismE0ELb0ES3_N6thrust23THRUST_200600_302600_NS18transform_iteratorI9row_indexNS9_17counting_iteratorImNS9_11use_defaultESD_SD_EESD_SD_EENS9_6detail15normal_iteratorINS9_10device_ptrIiEEEESK_iNS9_4plusIvEENS9_8equal_toIvEEiEE10hipError_tPvRmT2_T3_T4_T5_mT6_T7_P12ihipStream_tbENKUlT_T0_E_clISt17integral_constantIbLb0EES14_IbLb1EEEEDaS10_S11_EUlS10_E_NS1_11comp_targetILNS1_3genE8ELNS1_11target_archE1030ELNS1_3gpuE2ELNS1_3repE0EEENS1_30default_config_static_selectorELNS0_4arch9wavefront6targetE1EEEvT1_, .Lfunc_end44-_ZN7rocprim17ROCPRIM_400000_NS6detail17trampoline_kernelINS0_14default_configENS1_27scan_by_key_config_selectorImiEEZZNS1_16scan_by_key_implILNS1_25lookback_scan_determinismE0ELb0ES3_N6thrust23THRUST_200600_302600_NS18transform_iteratorI9row_indexNS9_17counting_iteratorImNS9_11use_defaultESD_SD_EESD_SD_EENS9_6detail15normal_iteratorINS9_10device_ptrIiEEEESK_iNS9_4plusIvEENS9_8equal_toIvEEiEE10hipError_tPvRmT2_T3_T4_T5_mT6_T7_P12ihipStream_tbENKUlT_T0_E_clISt17integral_constantIbLb0EES14_IbLb1EEEEDaS10_S11_EUlS10_E_NS1_11comp_targetILNS1_3genE8ELNS1_11target_archE1030ELNS1_3gpuE2ELNS1_3repE0EEENS1_30default_config_static_selectorELNS0_4arch9wavefront6targetE1EEEvT1_
                                        ; -- End function
	.section	.AMDGPU.csdata,"",@progbits
; Kernel info:
; codeLenInByte = 0
; NumSgprs: 4
; NumVgprs: 0
; NumAgprs: 0
; TotalNumVgprs: 0
; ScratchSize: 0
; MemoryBound: 0
; FloatMode: 240
; IeeeMode: 1
; LDSByteSize: 0 bytes/workgroup (compile time only)
; SGPRBlocks: 0
; VGPRBlocks: 0
; NumSGPRsForWavesPerEU: 4
; NumVGPRsForWavesPerEU: 1
; AccumOffset: 4
; Occupancy: 8
; WaveLimiterHint : 0
; COMPUTE_PGM_RSRC2:SCRATCH_EN: 0
; COMPUTE_PGM_RSRC2:USER_SGPR: 6
; COMPUTE_PGM_RSRC2:TRAP_HANDLER: 0
; COMPUTE_PGM_RSRC2:TGID_X_EN: 1
; COMPUTE_PGM_RSRC2:TGID_Y_EN: 0
; COMPUTE_PGM_RSRC2:TGID_Z_EN: 0
; COMPUTE_PGM_RSRC2:TIDIG_COMP_CNT: 0
; COMPUTE_PGM_RSRC3_GFX90A:ACCUM_OFFSET: 0
; COMPUTE_PGM_RSRC3_GFX90A:TG_SPLIT: 0
	.section	.text._ZN6thrust23THRUST_200600_302600_NS11hip_rocprim14__parallel_for6kernelILj256ENS1_11__transform17unary_transform_fINS0_20permutation_iteratorINS0_6detail15normal_iteratorINS0_10device_ptrIiEEEENS0_18transform_iteratorI15transpose_indexNS0_17counting_iteratorImNS0_11use_defaultESF_SF_EESF_SF_EEEESB_NS4_14no_stencil_tagENS1_8identityENS4_21always_true_predicateEEExLj1EEEvT0_T1_SO_,"axG",@progbits,_ZN6thrust23THRUST_200600_302600_NS11hip_rocprim14__parallel_for6kernelILj256ENS1_11__transform17unary_transform_fINS0_20permutation_iteratorINS0_6detail15normal_iteratorINS0_10device_ptrIiEEEENS0_18transform_iteratorI15transpose_indexNS0_17counting_iteratorImNS0_11use_defaultESF_SF_EESF_SF_EEEESB_NS4_14no_stencil_tagENS1_8identityENS4_21always_true_predicateEEExLj1EEEvT0_T1_SO_,comdat
	.protected	_ZN6thrust23THRUST_200600_302600_NS11hip_rocprim14__parallel_for6kernelILj256ENS1_11__transform17unary_transform_fINS0_20permutation_iteratorINS0_6detail15normal_iteratorINS0_10device_ptrIiEEEENS0_18transform_iteratorI15transpose_indexNS0_17counting_iteratorImNS0_11use_defaultESF_SF_EESF_SF_EEEESB_NS4_14no_stencil_tagENS1_8identityENS4_21always_true_predicateEEExLj1EEEvT0_T1_SO_ ; -- Begin function _ZN6thrust23THRUST_200600_302600_NS11hip_rocprim14__parallel_for6kernelILj256ENS1_11__transform17unary_transform_fINS0_20permutation_iteratorINS0_6detail15normal_iteratorINS0_10device_ptrIiEEEENS0_18transform_iteratorI15transpose_indexNS0_17counting_iteratorImNS0_11use_defaultESF_SF_EESF_SF_EEEESB_NS4_14no_stencil_tagENS1_8identityENS4_21always_true_predicateEEExLj1EEEvT0_T1_SO_
	.globl	_ZN6thrust23THRUST_200600_302600_NS11hip_rocprim14__parallel_for6kernelILj256ENS1_11__transform17unary_transform_fINS0_20permutation_iteratorINS0_6detail15normal_iteratorINS0_10device_ptrIiEEEENS0_18transform_iteratorI15transpose_indexNS0_17counting_iteratorImNS0_11use_defaultESF_SF_EESF_SF_EEEESB_NS4_14no_stencil_tagENS1_8identityENS4_21always_true_predicateEEExLj1EEEvT0_T1_SO_
	.p2align	8
	.type	_ZN6thrust23THRUST_200600_302600_NS11hip_rocprim14__parallel_for6kernelILj256ENS1_11__transform17unary_transform_fINS0_20permutation_iteratorINS0_6detail15normal_iteratorINS0_10device_ptrIiEEEENS0_18transform_iteratorI15transpose_indexNS0_17counting_iteratorImNS0_11use_defaultESF_SF_EESF_SF_EEEESB_NS4_14no_stencil_tagENS1_8identityENS4_21always_true_predicateEEExLj1EEEvT0_T1_SO_,@function
_ZN6thrust23THRUST_200600_302600_NS11hip_rocprim14__parallel_for6kernelILj256ENS1_11__transform17unary_transform_fINS0_20permutation_iteratorINS0_6detail15normal_iteratorINS0_10device_ptrIiEEEENS0_18transform_iteratorI15transpose_indexNS0_17counting_iteratorImNS0_11use_defaultESF_SF_EESF_SF_EEEESB_NS4_14no_stencil_tagENS1_8identityENS4_21always_true_predicateEEExLj1EEEvT0_T1_SO_: ; @_ZN6thrust23THRUST_200600_302600_NS11hip_rocprim14__parallel_for6kernelILj256ENS1_11__transform17unary_transform_fINS0_20permutation_iteratorINS0_6detail15normal_iteratorINS0_10device_ptrIiEEEENS0_18transform_iteratorI15transpose_indexNS0_17counting_iteratorImNS0_11use_defaultESF_SF_EESF_SF_EEEESB_NS4_14no_stencil_tagENS1_8identityENS4_21always_true_predicateEEExLj1EEEvT0_T1_SO_
; %bb.0:
	s_load_dwordx4 s[8:11], s[4:5], 0x30
	s_lshl_b32 s0, s6, 8
	v_mov_b32_e32 v2, 0x100
	v_mov_b32_e32 v3, 0
	s_waitcnt lgkmcnt(0)
	s_add_u32 s0, s0, s10
	s_addc_u32 s1, 0, s11
	s_sub_u32 s2, s8, s0
	s_subb_u32 s3, s9, s1
	v_cmp_lt_i64_e32 vcc, s[2:3], v[2:3]
	s_and_b64 s[6:7], vcc, exec
	s_cselect_b32 s6, s2, 0x100
	s_cmpk_eq_i32 s6, 0x100
	s_cselect_b64 s[2:3], -1, 0
	v_cmp_gt_u32_e32 vcc, s6, v0
	s_or_b64 s[2:3], s[2:3], vcc
	s_and_saveexec_b64 s[6:7], s[2:3]
	s_cbranch_execz .LBB45_6
; %bb.1:
	s_load_dwordx8 s[8:15], s[4:5], 0x0
	s_load_dwordx2 s[2:3], s[4:5], 0x20
	v_mov_b32_e32 v1, s1
	v_add_co_u32_e32 v0, vcc, s0, v0
	v_addc_co_u32_e32 v1, vcc, 0, v1, vcc
	s_waitcnt lgkmcnt(0)
	v_mov_b32_e32 v3, s9
	v_add_co_u32_e32 v4, vcc, s8, v0
	v_addc_co_u32_e32 v5, vcc, v3, v1, vcc
	v_mov_b32_e32 v2, 0
	v_or_b32_e32 v3, s13, v5
	v_cmp_ne_u64_e32 vcc, 0, v[2:3]
                                        ; implicit-def: $vgpr2_vgpr3
	s_and_saveexec_b64 s[0:1], vcc
	s_xor_b64 s[4:5], exec, s[0:1]
	s_cbranch_execz .LBB45_3
; %bb.2:
	v_cvt_f32_u32_e32 v2, s12
	v_cvt_f32_u32_e32 v3, s13
	s_sub_u32 s0, 0, s12
	s_subb_u32 s1, 0, s13
	v_madmk_f32 v2, v3, 0x4f800000, v2
	v_rcp_f32_e32 v2, v2
	v_mul_f32_e32 v2, 0x5f7ffffc, v2
	v_mul_f32_e32 v3, 0x2f800000, v2
	v_trunc_f32_e32 v3, v3
	v_madmk_f32 v2, v3, 0xcf800000, v2
	v_cvt_u32_f32_e32 v3, v3
	v_cvt_u32_f32_e32 v2, v2
	v_mul_lo_u32 v6, s0, v3
	v_mul_hi_u32 v8, s0, v2
	v_mul_lo_u32 v7, s1, v2
	v_add_u32_e32 v6, v8, v6
	v_mul_lo_u32 v9, s0, v2
	v_add_u32_e32 v6, v6, v7
	v_mul_hi_u32 v8, v2, v9
	v_mul_lo_u32 v10, v2, v6
	v_mul_hi_u32 v7, v2, v6
	v_add_co_u32_e32 v8, vcc, v8, v10
	v_addc_co_u32_e32 v7, vcc, 0, v7, vcc
	v_mul_hi_u32 v11, v3, v9
	v_mul_lo_u32 v9, v3, v9
	v_add_co_u32_e32 v8, vcc, v8, v9
	v_mul_hi_u32 v10, v3, v6
	v_addc_co_u32_e32 v7, vcc, v7, v11, vcc
	v_addc_co_u32_e32 v8, vcc, 0, v10, vcc
	v_mul_lo_u32 v6, v3, v6
	v_add_co_u32_e32 v6, vcc, v7, v6
	v_addc_co_u32_e32 v7, vcc, 0, v8, vcc
	v_add_co_u32_e32 v2, vcc, v2, v6
	v_addc_co_u32_e32 v3, vcc, v3, v7, vcc
	v_mul_lo_u32 v6, s0, v3
	v_mul_hi_u32 v7, s0, v2
	v_add_u32_e32 v6, v7, v6
	v_mul_lo_u32 v7, s1, v2
	v_add_u32_e32 v6, v6, v7
	v_mul_lo_u32 v8, s0, v2
	v_mul_hi_u32 v9, v3, v8
	v_mul_lo_u32 v10, v3, v8
	v_mul_lo_u32 v12, v2, v6
	v_mul_hi_u32 v8, v2, v8
	v_mul_hi_u32 v11, v2, v6
	v_add_co_u32_e32 v8, vcc, v8, v12
	v_addc_co_u32_e32 v11, vcc, 0, v11, vcc
	v_add_co_u32_e32 v8, vcc, v8, v10
	v_mul_hi_u32 v7, v3, v6
	v_addc_co_u32_e32 v8, vcc, v11, v9, vcc
	v_addc_co_u32_e32 v7, vcc, 0, v7, vcc
	v_mul_lo_u32 v6, v3, v6
	v_add_co_u32_e32 v6, vcc, v8, v6
	v_addc_co_u32_e32 v7, vcc, 0, v7, vcc
	v_add_co_u32_e32 v6, vcc, v2, v6
	v_addc_co_u32_e32 v7, vcc, v3, v7, vcc
	v_mad_u64_u32 v[2:3], s[0:1], v4, v7, 0
	v_mul_hi_u32 v8, v4, v6
	v_add_co_u32_e32 v8, vcc, v8, v2
	v_addc_co_u32_e32 v9, vcc, 0, v3, vcc
	v_mad_u64_u32 v[2:3], s[0:1], v5, v7, 0
	v_mad_u64_u32 v[6:7], s[0:1], v5, v6, 0
	v_add_co_u32_e32 v6, vcc, v8, v6
	v_addc_co_u32_e32 v6, vcc, v9, v7, vcc
	v_addc_co_u32_e32 v3, vcc, 0, v3, vcc
	v_add_co_u32_e32 v6, vcc, v6, v2
	v_addc_co_u32_e32 v7, vcc, 0, v3, vcc
	v_mul_lo_u32 v8, s13, v6
	v_mul_lo_u32 v9, s12, v7
	v_mad_u64_u32 v[2:3], s[0:1], s12, v6, 0
	v_add3_u32 v3, v3, v9, v8
	v_sub_u32_e32 v8, v5, v3
	v_mov_b32_e32 v9, s13
	v_sub_co_u32_e32 v2, vcc, v4, v2
	v_subb_co_u32_e64 v8, s[0:1], v8, v9, vcc
	v_subrev_co_u32_e64 v9, s[0:1], s12, v2
	v_subbrev_co_u32_e64 v8, s[0:1], 0, v8, s[0:1]
	v_cmp_le_u32_e64 s[0:1], s13, v8
	v_cndmask_b32_e64 v10, 0, -1, s[0:1]
	v_cmp_le_u32_e64 s[0:1], s12, v9
	v_cndmask_b32_e64 v9, 0, -1, s[0:1]
	v_cmp_eq_u32_e64 s[0:1], s13, v8
	v_cndmask_b32_e64 v8, v10, v9, s[0:1]
	v_add_co_u32_e64 v9, s[0:1], 2, v6
	v_addc_co_u32_e64 v10, s[0:1], 0, v7, s[0:1]
	v_add_co_u32_e64 v11, s[0:1], 1, v6
	v_addc_co_u32_e64 v12, s[0:1], 0, v7, s[0:1]
	v_subb_co_u32_e32 v3, vcc, v5, v3, vcc
	v_cmp_ne_u32_e64 s[0:1], 0, v8
	v_cmp_le_u32_e32 vcc, s13, v3
	v_cndmask_b32_e64 v8, v12, v10, s[0:1]
	v_cndmask_b32_e64 v10, 0, -1, vcc
	v_cmp_le_u32_e32 vcc, s12, v2
	v_cndmask_b32_e64 v2, 0, -1, vcc
	v_cmp_eq_u32_e32 vcc, s13, v3
	v_cndmask_b32_e32 v2, v10, v2, vcc
	v_cmp_ne_u32_e32 vcc, 0, v2
	v_cndmask_b32_e64 v2, v11, v9, s[0:1]
	v_cndmask_b32_e32 v3, v7, v8, vcc
	v_cndmask_b32_e32 v2, v6, v2, vcc
.LBB45_3:
	s_andn2_saveexec_b64 s[0:1], s[4:5]
	s_cbranch_execz .LBB45_5
; %bb.4:
	v_cvt_f32_u32_e32 v2, s12
	s_sub_i32 s4, 0, s12
	v_rcp_iflag_f32_e32 v2, v2
	v_mul_f32_e32 v2, 0x4f7ffffe, v2
	v_cvt_u32_f32_e32 v2, v2
	v_mul_lo_u32 v3, s4, v2
	v_mul_hi_u32 v3, v2, v3
	v_add_u32_e32 v2, v2, v3
	v_mul_hi_u32 v2, v4, v2
	v_mul_lo_u32 v3, v2, s12
	v_sub_u32_e32 v3, v4, v3
	v_add_u32_e32 v6, 1, v2
	v_subrev_u32_e32 v7, s12, v3
	v_cmp_le_u32_e32 vcc, s12, v3
	v_cndmask_b32_e32 v3, v3, v7, vcc
	v_cndmask_b32_e32 v2, v2, v6, vcc
	v_add_u32_e32 v6, 1, v2
	v_cmp_le_u32_e32 vcc, s12, v3
	v_cndmask_b32_e32 v2, v2, v6, vcc
	v_mov_b32_e32 v3, 0
.LBB45_5:
	s_or_b64 exec, exec, s[0:1]
	v_mul_lo_u32 v8, v3, s12
	v_mul_lo_u32 v9, v2, s13
	v_mad_u64_u32 v[6:7], s[0:1], v2, s12, 0
	v_add3_u32 v7, v7, v9, v8
	v_sub_co_u32_e32 v4, vcc, v4, v6
	v_subb_co_u32_e32 v5, vcc, v5, v7, vcc
	v_mul_lo_u32 v6, v5, s10
	v_mul_lo_u32 v7, v4, s11
	v_mad_u64_u32 v[4:5], s[0:1], v4, s10, 0
	v_add3_u32 v5, v5, v7, v6
	v_lshlrev_b64 v[4:5], 2, v[4:5]
	v_mov_b32_e32 v6, s15
	v_add_co_u32_e32 v4, vcc, s14, v4
	v_addc_co_u32_e32 v5, vcc, v6, v5, vcc
	v_lshlrev_b64 v[2:3], 2, v[2:3]
	v_add_co_u32_e32 v2, vcc, v4, v2
	v_addc_co_u32_e32 v3, vcc, v5, v3, vcc
	global_load_dword v2, v[2:3], off
	v_lshlrev_b64 v[0:1], 2, v[0:1]
	v_mov_b32_e32 v3, s3
	v_add_co_u32_e32 v0, vcc, s2, v0
	v_addc_co_u32_e32 v1, vcc, v3, v1, vcc
	s_waitcnt vmcnt(0)
	flat_store_dword v[0:1], v2
.LBB45_6:
	s_endpgm
	.section	.rodata,"a",@progbits
	.p2align	6, 0x0
	.amdhsa_kernel _ZN6thrust23THRUST_200600_302600_NS11hip_rocprim14__parallel_for6kernelILj256ENS1_11__transform17unary_transform_fINS0_20permutation_iteratorINS0_6detail15normal_iteratorINS0_10device_ptrIiEEEENS0_18transform_iteratorI15transpose_indexNS0_17counting_iteratorImNS0_11use_defaultESF_SF_EESF_SF_EEEESB_NS4_14no_stencil_tagENS1_8identityENS4_21always_true_predicateEEExLj1EEEvT0_T1_SO_
		.amdhsa_group_segment_fixed_size 0
		.amdhsa_private_segment_fixed_size 0
		.amdhsa_kernarg_size 64
		.amdhsa_user_sgpr_count 6
		.amdhsa_user_sgpr_private_segment_buffer 1
		.amdhsa_user_sgpr_dispatch_ptr 0
		.amdhsa_user_sgpr_queue_ptr 0
		.amdhsa_user_sgpr_kernarg_segment_ptr 1
		.amdhsa_user_sgpr_dispatch_id 0
		.amdhsa_user_sgpr_flat_scratch_init 0
		.amdhsa_user_sgpr_kernarg_preload_length 0
		.amdhsa_user_sgpr_kernarg_preload_offset 0
		.amdhsa_user_sgpr_private_segment_size 0
		.amdhsa_uses_dynamic_stack 0
		.amdhsa_system_sgpr_private_segment_wavefront_offset 0
		.amdhsa_system_sgpr_workgroup_id_x 1
		.amdhsa_system_sgpr_workgroup_id_y 0
		.amdhsa_system_sgpr_workgroup_id_z 0
		.amdhsa_system_sgpr_workgroup_info 0
		.amdhsa_system_vgpr_workitem_id 0
		.amdhsa_next_free_vgpr 13
		.amdhsa_next_free_sgpr 16
		.amdhsa_accum_offset 16
		.amdhsa_reserve_vcc 1
		.amdhsa_reserve_flat_scratch 0
		.amdhsa_float_round_mode_32 0
		.amdhsa_float_round_mode_16_64 0
		.amdhsa_float_denorm_mode_32 3
		.amdhsa_float_denorm_mode_16_64 3
		.amdhsa_dx10_clamp 1
		.amdhsa_ieee_mode 1
		.amdhsa_fp16_overflow 0
		.amdhsa_tg_split 0
		.amdhsa_exception_fp_ieee_invalid_op 0
		.amdhsa_exception_fp_denorm_src 0
		.amdhsa_exception_fp_ieee_div_zero 0
		.amdhsa_exception_fp_ieee_overflow 0
		.amdhsa_exception_fp_ieee_underflow 0
		.amdhsa_exception_fp_ieee_inexact 0
		.amdhsa_exception_int_div_zero 0
	.end_amdhsa_kernel
	.section	.text._ZN6thrust23THRUST_200600_302600_NS11hip_rocprim14__parallel_for6kernelILj256ENS1_11__transform17unary_transform_fINS0_20permutation_iteratorINS0_6detail15normal_iteratorINS0_10device_ptrIiEEEENS0_18transform_iteratorI15transpose_indexNS0_17counting_iteratorImNS0_11use_defaultESF_SF_EESF_SF_EEEESB_NS4_14no_stencil_tagENS1_8identityENS4_21always_true_predicateEEExLj1EEEvT0_T1_SO_,"axG",@progbits,_ZN6thrust23THRUST_200600_302600_NS11hip_rocprim14__parallel_for6kernelILj256ENS1_11__transform17unary_transform_fINS0_20permutation_iteratorINS0_6detail15normal_iteratorINS0_10device_ptrIiEEEENS0_18transform_iteratorI15transpose_indexNS0_17counting_iteratorImNS0_11use_defaultESF_SF_EESF_SF_EEEESB_NS4_14no_stencil_tagENS1_8identityENS4_21always_true_predicateEEExLj1EEEvT0_T1_SO_,comdat
.Lfunc_end45:
	.size	_ZN6thrust23THRUST_200600_302600_NS11hip_rocprim14__parallel_for6kernelILj256ENS1_11__transform17unary_transform_fINS0_20permutation_iteratorINS0_6detail15normal_iteratorINS0_10device_ptrIiEEEENS0_18transform_iteratorI15transpose_indexNS0_17counting_iteratorImNS0_11use_defaultESF_SF_EESF_SF_EEEESB_NS4_14no_stencil_tagENS1_8identityENS4_21always_true_predicateEEExLj1EEEvT0_T1_SO_, .Lfunc_end45-_ZN6thrust23THRUST_200600_302600_NS11hip_rocprim14__parallel_for6kernelILj256ENS1_11__transform17unary_transform_fINS0_20permutation_iteratorINS0_6detail15normal_iteratorINS0_10device_ptrIiEEEENS0_18transform_iteratorI15transpose_indexNS0_17counting_iteratorImNS0_11use_defaultESF_SF_EESF_SF_EEEESB_NS4_14no_stencil_tagENS1_8identityENS4_21always_true_predicateEEExLj1EEEvT0_T1_SO_
                                        ; -- End function
	.section	.AMDGPU.csdata,"",@progbits
; Kernel info:
; codeLenInByte = 1032
; NumSgprs: 20
; NumVgprs: 13
; NumAgprs: 0
; TotalNumVgprs: 13
; ScratchSize: 0
; MemoryBound: 0
; FloatMode: 240
; IeeeMode: 1
; LDSByteSize: 0 bytes/workgroup (compile time only)
; SGPRBlocks: 2
; VGPRBlocks: 1
; NumSGPRsForWavesPerEU: 20
; NumVGPRsForWavesPerEU: 13
; AccumOffset: 16
; Occupancy: 8
; WaveLimiterHint : 0
; COMPUTE_PGM_RSRC2:SCRATCH_EN: 0
; COMPUTE_PGM_RSRC2:USER_SGPR: 6
; COMPUTE_PGM_RSRC2:TRAP_HANDLER: 0
; COMPUTE_PGM_RSRC2:TGID_X_EN: 1
; COMPUTE_PGM_RSRC2:TGID_Y_EN: 0
; COMPUTE_PGM_RSRC2:TGID_Z_EN: 0
; COMPUTE_PGM_RSRC2:TIDIG_COMP_CNT: 0
; COMPUTE_PGM_RSRC3_GFX90A:ACCUM_OFFSET: 3
; COMPUTE_PGM_RSRC3_GFX90A:TG_SPLIT: 0
	.text
	.p2alignl 6, 3212836864
	.fill 256, 4, 3212836864
	.type	__hip_cuid_e09b8333f8c0254a,@object ; @__hip_cuid_e09b8333f8c0254a
	.section	.bss,"aw",@nobits
	.globl	__hip_cuid_e09b8333f8c0254a
__hip_cuid_e09b8333f8c0254a:
	.byte	0                               ; 0x0
	.size	__hip_cuid_e09b8333f8c0254a, 1

	.ident	"AMD clang version 19.0.0git (https://github.com/RadeonOpenCompute/llvm-project roc-6.4.0 25133 c7fe45cf4b819c5991fe208aaa96edf142730f1d)"
	.section	".note.GNU-stack","",@progbits
	.addrsig
	.addrsig_sym __hip_cuid_e09b8333f8c0254a
	.amdgpu_metadata
---
amdhsa.kernels:
  - .agpr_count:     0
    .args:
      - .offset:         0
        .size:           16
        .value_kind:     by_value
      - .offset:         16
        .size:           8
        .value_kind:     by_value
      - .offset:         24
        .size:           8
        .value_kind:     by_value
    .group_segment_fixed_size: 0
    .kernarg_segment_align: 8
    .kernarg_segment_size: 32
    .language:       OpenCL C
    .language_version:
      - 2
      - 0
    .max_flat_workgroup_size: 256
    .name:           _ZN6thrust23THRUST_200600_302600_NS11hip_rocprim14__parallel_for6kernelILj256ENS1_20__uninitialized_fill7functorINS0_10device_ptrIiEEiEEmLj1EEEvT0_T1_SA_
    .private_segment_fixed_size: 0
    .sgpr_count:     16
    .sgpr_spill_count: 0
    .symbol:         _ZN6thrust23THRUST_200600_302600_NS11hip_rocprim14__parallel_for6kernelILj256ENS1_20__uninitialized_fill7functorINS0_10device_ptrIiEEiEEmLj1EEEvT0_T1_SA_.kd
    .uniform_work_group_size: 1
    .uses_dynamic_stack: false
    .vgpr_count:     4
    .vgpr_spill_count: 0
    .wavefront_size: 64
  - .agpr_count:     0
    .args:
      - .address_space:  global
        .offset:         0
        .size:           8
        .value_kind:     global_buffer
      - .offset:         8
        .size:           4
        .value_kind:     by_value
      - .offset:         12
        .size:           4
        .value_kind:     by_value
      - .address_space:  global
        .offset:         16
        .size:           8
        .value_kind:     global_buffer
      - .offset:         24
        .size:           16
        .value_kind:     by_value
      - .actual_access:  write_only
        .address_space:  global
        .offset:         40
        .size:           8
        .value_kind:     global_buffer
      - .offset:         48
        .size:           8
        .value_kind:     by_value
      - .offset:         56
        .size:           4
        .value_kind:     by_value
      - .offset:         60
        .size:           1
        .value_kind:     by_value
      - .offset:         64
        .size:           4
        .value_kind:     hidden_block_count_x
      - .offset:         68
        .size:           4
        .value_kind:     hidden_block_count_y
      - .offset:         72
        .size:           4
        .value_kind:     hidden_block_count_z
      - .offset:         76
        .size:           2
        .value_kind:     hidden_group_size_x
      - .offset:         78
        .size:           2
        .value_kind:     hidden_group_size_y
      - .offset:         80
        .size:           2
        .value_kind:     hidden_group_size_z
      - .offset:         82
        .size:           2
        .value_kind:     hidden_remainder_x
      - .offset:         84
        .size:           2
        .value_kind:     hidden_remainder_y
      - .offset:         86
        .size:           2
        .value_kind:     hidden_remainder_z
      - .offset:         104
        .size:           8
        .value_kind:     hidden_global_offset_x
      - .offset:         112
        .size:           8
        .value_kind:     hidden_global_offset_y
      - .offset:         120
        .size:           8
        .value_kind:     hidden_global_offset_z
      - .offset:         128
        .size:           2
        .value_kind:     hidden_grid_dims
    .group_segment_fixed_size: 0
    .kernarg_segment_align: 8
    .kernarg_segment_size: 320
    .language:       OpenCL C
    .language_version:
      - 2
      - 0
    .max_flat_workgroup_size: 256
    .name:           _ZN7rocprim17ROCPRIM_400000_NS6detail30init_device_scan_by_key_kernelINS1_19lookback_scan_stateINS0_5tupleIJibEEELb0ELb1EEEN6thrust23THRUST_200600_302600_NS18transform_iteratorI9row_indexNS8_17counting_iteratorImNS8_11use_defaultESC_SC_EESC_SC_EEjNS1_16block_id_wrapperIjLb0EEEEEvT_jjPNSH_10value_typeET0_PNSt15iterator_traitsISK_E10value_typeEmT1_T2_
    .private_segment_fixed_size: 0
    .sgpr_count:     24
    .sgpr_spill_count: 0
    .symbol:         _ZN7rocprim17ROCPRIM_400000_NS6detail30init_device_scan_by_key_kernelINS1_19lookback_scan_stateINS0_5tupleIJibEEELb0ELb1EEEN6thrust23THRUST_200600_302600_NS18transform_iteratorI9row_indexNS8_17counting_iteratorImNS8_11use_defaultESC_SC_EESC_SC_EEjNS1_16block_id_wrapperIjLb0EEEEEvT_jjPNSH_10value_typeET0_PNSt15iterator_traitsISK_E10value_typeEmT1_T2_.kd
    .uniform_work_group_size: 1
    .uses_dynamic_stack: false
    .vgpr_count:     19
    .vgpr_spill_count: 0
    .wavefront_size: 64
  - .agpr_count:     0
    .args:
      - .address_space:  global
        .offset:         0
        .size:           8
        .value_kind:     global_buffer
      - .offset:         8
        .size:           4
        .value_kind:     by_value
      - .offset:         12
        .size:           4
        .value_kind:     by_value
      - .address_space:  global
        .offset:         16
        .size:           8
        .value_kind:     global_buffer
      - .offset:         24
        .size:           1
        .value_kind:     by_value
      - .offset:         32
        .size:           4
        .value_kind:     hidden_block_count_x
      - .offset:         36
        .size:           4
        .value_kind:     hidden_block_count_y
      - .offset:         40
        .size:           4
        .value_kind:     hidden_block_count_z
      - .offset:         44
        .size:           2
        .value_kind:     hidden_group_size_x
      - .offset:         46
        .size:           2
        .value_kind:     hidden_group_size_y
      - .offset:         48
        .size:           2
        .value_kind:     hidden_group_size_z
      - .offset:         50
        .size:           2
        .value_kind:     hidden_remainder_x
      - .offset:         52
        .size:           2
        .value_kind:     hidden_remainder_y
      - .offset:         54
        .size:           2
        .value_kind:     hidden_remainder_z
      - .offset:         72
        .size:           8
        .value_kind:     hidden_global_offset_x
      - .offset:         80
        .size:           8
        .value_kind:     hidden_global_offset_y
      - .offset:         88
        .size:           8
        .value_kind:     hidden_global_offset_z
      - .offset:         96
        .size:           2
        .value_kind:     hidden_grid_dims
    .group_segment_fixed_size: 0
    .kernarg_segment_align: 8
    .kernarg_segment_size: 288
    .language:       OpenCL C
    .language_version:
      - 2
      - 0
    .max_flat_workgroup_size: 256
    .name:           _ZN7rocprim17ROCPRIM_400000_NS6detail30init_device_scan_by_key_kernelINS1_19lookback_scan_stateINS0_5tupleIJibEEELb0ELb1EEENS1_16block_id_wrapperIjLb0EEEEEvT_jjPNS9_10value_typeET0_
    .private_segment_fixed_size: 0
    .sgpr_count:     18
    .sgpr_spill_count: 0
    .symbol:         _ZN7rocprim17ROCPRIM_400000_NS6detail30init_device_scan_by_key_kernelINS1_19lookback_scan_stateINS0_5tupleIJibEEELb0ELb1EEENS1_16block_id_wrapperIjLb0EEEEEvT_jjPNS9_10value_typeET0_.kd
    .uniform_work_group_size: 1
    .uses_dynamic_stack: false
    .vgpr_count:     10
    .vgpr_spill_count: 0
    .wavefront_size: 64
  - .agpr_count:     0
    .args:
      - .offset:         0
        .size:           120
        .value_kind:     by_value
    .group_segment_fixed_size: 0
    .kernarg_segment_align: 8
    .kernarg_segment_size: 120
    .language:       OpenCL C
    .language_version:
      - 2
      - 0
    .max_flat_workgroup_size: 256
    .name:           _ZN7rocprim17ROCPRIM_400000_NS6detail17trampoline_kernelINS0_14default_configENS1_27scan_by_key_config_selectorImiEEZZNS1_16scan_by_key_implILNS1_25lookback_scan_determinismE0ELb0ES3_N6thrust23THRUST_200600_302600_NS18transform_iteratorI9row_indexNS9_17counting_iteratorImNS9_11use_defaultESD_SD_EESD_SD_EENS9_6detail15normal_iteratorINS9_10device_ptrIiEEEESK_iNS9_4plusIvEENS9_8equal_toIvEEiEE10hipError_tPvRmT2_T3_T4_T5_mT6_T7_P12ihipStream_tbENKUlT_T0_E_clISt17integral_constantIbLb0EES15_EEDaS10_S11_EUlS10_E_NS1_11comp_targetILNS1_3genE0ELNS1_11target_archE4294967295ELNS1_3gpuE0ELNS1_3repE0EEENS1_30default_config_static_selectorELNS0_4arch9wavefront6targetE1EEEvT1_
    .private_segment_fixed_size: 0
    .sgpr_count:     4
    .sgpr_spill_count: 0
    .symbol:         _ZN7rocprim17ROCPRIM_400000_NS6detail17trampoline_kernelINS0_14default_configENS1_27scan_by_key_config_selectorImiEEZZNS1_16scan_by_key_implILNS1_25lookback_scan_determinismE0ELb0ES3_N6thrust23THRUST_200600_302600_NS18transform_iteratorI9row_indexNS9_17counting_iteratorImNS9_11use_defaultESD_SD_EESD_SD_EENS9_6detail15normal_iteratorINS9_10device_ptrIiEEEESK_iNS9_4plusIvEENS9_8equal_toIvEEiEE10hipError_tPvRmT2_T3_T4_T5_mT6_T7_P12ihipStream_tbENKUlT_T0_E_clISt17integral_constantIbLb0EES15_EEDaS10_S11_EUlS10_E_NS1_11comp_targetILNS1_3genE0ELNS1_11target_archE4294967295ELNS1_3gpuE0ELNS1_3repE0EEENS1_30default_config_static_selectorELNS0_4arch9wavefront6targetE1EEEvT1_.kd
    .uniform_work_group_size: 1
    .uses_dynamic_stack: false
    .vgpr_count:     0
    .vgpr_spill_count: 0
    .wavefront_size: 64
  - .agpr_count:     0
    .args:
      - .offset:         0
        .size:           120
        .value_kind:     by_value
    .group_segment_fixed_size: 0
    .kernarg_segment_align: 8
    .kernarg_segment_size: 120
    .language:       OpenCL C
    .language_version:
      - 2
      - 0
    .max_flat_workgroup_size: 256
    .name:           _ZN7rocprim17ROCPRIM_400000_NS6detail17trampoline_kernelINS0_14default_configENS1_27scan_by_key_config_selectorImiEEZZNS1_16scan_by_key_implILNS1_25lookback_scan_determinismE0ELb0ES3_N6thrust23THRUST_200600_302600_NS18transform_iteratorI9row_indexNS9_17counting_iteratorImNS9_11use_defaultESD_SD_EESD_SD_EENS9_6detail15normal_iteratorINS9_10device_ptrIiEEEESK_iNS9_4plusIvEENS9_8equal_toIvEEiEE10hipError_tPvRmT2_T3_T4_T5_mT6_T7_P12ihipStream_tbENKUlT_T0_E_clISt17integral_constantIbLb0EES15_EEDaS10_S11_EUlS10_E_NS1_11comp_targetILNS1_3genE10ELNS1_11target_archE1201ELNS1_3gpuE5ELNS1_3repE0EEENS1_30default_config_static_selectorELNS0_4arch9wavefront6targetE1EEEvT1_
    .private_segment_fixed_size: 0
    .sgpr_count:     4
    .sgpr_spill_count: 0
    .symbol:         _ZN7rocprim17ROCPRIM_400000_NS6detail17trampoline_kernelINS0_14default_configENS1_27scan_by_key_config_selectorImiEEZZNS1_16scan_by_key_implILNS1_25lookback_scan_determinismE0ELb0ES3_N6thrust23THRUST_200600_302600_NS18transform_iteratorI9row_indexNS9_17counting_iteratorImNS9_11use_defaultESD_SD_EESD_SD_EENS9_6detail15normal_iteratorINS9_10device_ptrIiEEEESK_iNS9_4plusIvEENS9_8equal_toIvEEiEE10hipError_tPvRmT2_T3_T4_T5_mT6_T7_P12ihipStream_tbENKUlT_T0_E_clISt17integral_constantIbLb0EES15_EEDaS10_S11_EUlS10_E_NS1_11comp_targetILNS1_3genE10ELNS1_11target_archE1201ELNS1_3gpuE5ELNS1_3repE0EEENS1_30default_config_static_selectorELNS0_4arch9wavefront6targetE1EEEvT1_.kd
    .uniform_work_group_size: 1
    .uses_dynamic_stack: false
    .vgpr_count:     0
    .vgpr_spill_count: 0
    .wavefront_size: 64
  - .agpr_count:     0
    .args:
      - .offset:         0
        .size:           120
        .value_kind:     by_value
    .group_segment_fixed_size: 0
    .kernarg_segment_align: 8
    .kernarg_segment_size: 120
    .language:       OpenCL C
    .language_version:
      - 2
      - 0
    .max_flat_workgroup_size: 256
    .name:           _ZN7rocprim17ROCPRIM_400000_NS6detail17trampoline_kernelINS0_14default_configENS1_27scan_by_key_config_selectorImiEEZZNS1_16scan_by_key_implILNS1_25lookback_scan_determinismE0ELb0ES3_N6thrust23THRUST_200600_302600_NS18transform_iteratorI9row_indexNS9_17counting_iteratorImNS9_11use_defaultESD_SD_EESD_SD_EENS9_6detail15normal_iteratorINS9_10device_ptrIiEEEESK_iNS9_4plusIvEENS9_8equal_toIvEEiEE10hipError_tPvRmT2_T3_T4_T5_mT6_T7_P12ihipStream_tbENKUlT_T0_E_clISt17integral_constantIbLb0EES15_EEDaS10_S11_EUlS10_E_NS1_11comp_targetILNS1_3genE5ELNS1_11target_archE942ELNS1_3gpuE9ELNS1_3repE0EEENS1_30default_config_static_selectorELNS0_4arch9wavefront6targetE1EEEvT1_
    .private_segment_fixed_size: 0
    .sgpr_count:     4
    .sgpr_spill_count: 0
    .symbol:         _ZN7rocprim17ROCPRIM_400000_NS6detail17trampoline_kernelINS0_14default_configENS1_27scan_by_key_config_selectorImiEEZZNS1_16scan_by_key_implILNS1_25lookback_scan_determinismE0ELb0ES3_N6thrust23THRUST_200600_302600_NS18transform_iteratorI9row_indexNS9_17counting_iteratorImNS9_11use_defaultESD_SD_EESD_SD_EENS9_6detail15normal_iteratorINS9_10device_ptrIiEEEESK_iNS9_4plusIvEENS9_8equal_toIvEEiEE10hipError_tPvRmT2_T3_T4_T5_mT6_T7_P12ihipStream_tbENKUlT_T0_E_clISt17integral_constantIbLb0EES15_EEDaS10_S11_EUlS10_E_NS1_11comp_targetILNS1_3genE5ELNS1_11target_archE942ELNS1_3gpuE9ELNS1_3repE0EEENS1_30default_config_static_selectorELNS0_4arch9wavefront6targetE1EEEvT1_.kd
    .uniform_work_group_size: 1
    .uses_dynamic_stack: false
    .vgpr_count:     0
    .vgpr_spill_count: 0
    .wavefront_size: 64
  - .agpr_count:     0
    .args:
      - .offset:         0
        .size:           120
        .value_kind:     by_value
    .group_segment_fixed_size: 32768
    .kernarg_segment_align: 8
    .kernarg_segment_size: 120
    .language:       OpenCL C
    .language_version:
      - 2
      - 0
    .max_flat_workgroup_size: 256
    .name:           _ZN7rocprim17ROCPRIM_400000_NS6detail17trampoline_kernelINS0_14default_configENS1_27scan_by_key_config_selectorImiEEZZNS1_16scan_by_key_implILNS1_25lookback_scan_determinismE0ELb0ES3_N6thrust23THRUST_200600_302600_NS18transform_iteratorI9row_indexNS9_17counting_iteratorImNS9_11use_defaultESD_SD_EESD_SD_EENS9_6detail15normal_iteratorINS9_10device_ptrIiEEEESK_iNS9_4plusIvEENS9_8equal_toIvEEiEE10hipError_tPvRmT2_T3_T4_T5_mT6_T7_P12ihipStream_tbENKUlT_T0_E_clISt17integral_constantIbLb0EES15_EEDaS10_S11_EUlS10_E_NS1_11comp_targetILNS1_3genE4ELNS1_11target_archE910ELNS1_3gpuE8ELNS1_3repE0EEENS1_30default_config_static_selectorELNS0_4arch9wavefront6targetE1EEEvT1_
    .private_segment_fixed_size: 0
    .sgpr_count:     76
    .sgpr_spill_count: 0
    .symbol:         _ZN7rocprim17ROCPRIM_400000_NS6detail17trampoline_kernelINS0_14default_configENS1_27scan_by_key_config_selectorImiEEZZNS1_16scan_by_key_implILNS1_25lookback_scan_determinismE0ELb0ES3_N6thrust23THRUST_200600_302600_NS18transform_iteratorI9row_indexNS9_17counting_iteratorImNS9_11use_defaultESD_SD_EESD_SD_EENS9_6detail15normal_iteratorINS9_10device_ptrIiEEEESK_iNS9_4plusIvEENS9_8equal_toIvEEiEE10hipError_tPvRmT2_T3_T4_T5_mT6_T7_P12ihipStream_tbENKUlT_T0_E_clISt17integral_constantIbLb0EES15_EEDaS10_S11_EUlS10_E_NS1_11comp_targetILNS1_3genE4ELNS1_11target_archE910ELNS1_3gpuE8ELNS1_3repE0EEENS1_30default_config_static_selectorELNS0_4arch9wavefront6targetE1EEEvT1_.kd
    .uniform_work_group_size: 1
    .uses_dynamic_stack: false
    .vgpr_count:     65
    .vgpr_spill_count: 0
    .wavefront_size: 64
  - .agpr_count:     0
    .args:
      - .offset:         0
        .size:           120
        .value_kind:     by_value
    .group_segment_fixed_size: 0
    .kernarg_segment_align: 8
    .kernarg_segment_size: 120
    .language:       OpenCL C
    .language_version:
      - 2
      - 0
    .max_flat_workgroup_size: 256
    .name:           _ZN7rocprim17ROCPRIM_400000_NS6detail17trampoline_kernelINS0_14default_configENS1_27scan_by_key_config_selectorImiEEZZNS1_16scan_by_key_implILNS1_25lookback_scan_determinismE0ELb0ES3_N6thrust23THRUST_200600_302600_NS18transform_iteratorI9row_indexNS9_17counting_iteratorImNS9_11use_defaultESD_SD_EESD_SD_EENS9_6detail15normal_iteratorINS9_10device_ptrIiEEEESK_iNS9_4plusIvEENS9_8equal_toIvEEiEE10hipError_tPvRmT2_T3_T4_T5_mT6_T7_P12ihipStream_tbENKUlT_T0_E_clISt17integral_constantIbLb0EES15_EEDaS10_S11_EUlS10_E_NS1_11comp_targetILNS1_3genE3ELNS1_11target_archE908ELNS1_3gpuE7ELNS1_3repE0EEENS1_30default_config_static_selectorELNS0_4arch9wavefront6targetE1EEEvT1_
    .private_segment_fixed_size: 0
    .sgpr_count:     4
    .sgpr_spill_count: 0
    .symbol:         _ZN7rocprim17ROCPRIM_400000_NS6detail17trampoline_kernelINS0_14default_configENS1_27scan_by_key_config_selectorImiEEZZNS1_16scan_by_key_implILNS1_25lookback_scan_determinismE0ELb0ES3_N6thrust23THRUST_200600_302600_NS18transform_iteratorI9row_indexNS9_17counting_iteratorImNS9_11use_defaultESD_SD_EESD_SD_EENS9_6detail15normal_iteratorINS9_10device_ptrIiEEEESK_iNS9_4plusIvEENS9_8equal_toIvEEiEE10hipError_tPvRmT2_T3_T4_T5_mT6_T7_P12ihipStream_tbENKUlT_T0_E_clISt17integral_constantIbLb0EES15_EEDaS10_S11_EUlS10_E_NS1_11comp_targetILNS1_3genE3ELNS1_11target_archE908ELNS1_3gpuE7ELNS1_3repE0EEENS1_30default_config_static_selectorELNS0_4arch9wavefront6targetE1EEEvT1_.kd
    .uniform_work_group_size: 1
    .uses_dynamic_stack: false
    .vgpr_count:     0
    .vgpr_spill_count: 0
    .wavefront_size: 64
  - .agpr_count:     0
    .args:
      - .offset:         0
        .size:           120
        .value_kind:     by_value
    .group_segment_fixed_size: 0
    .kernarg_segment_align: 8
    .kernarg_segment_size: 120
    .language:       OpenCL C
    .language_version:
      - 2
      - 0
    .max_flat_workgroup_size: 256
    .name:           _ZN7rocprim17ROCPRIM_400000_NS6detail17trampoline_kernelINS0_14default_configENS1_27scan_by_key_config_selectorImiEEZZNS1_16scan_by_key_implILNS1_25lookback_scan_determinismE0ELb0ES3_N6thrust23THRUST_200600_302600_NS18transform_iteratorI9row_indexNS9_17counting_iteratorImNS9_11use_defaultESD_SD_EESD_SD_EENS9_6detail15normal_iteratorINS9_10device_ptrIiEEEESK_iNS9_4plusIvEENS9_8equal_toIvEEiEE10hipError_tPvRmT2_T3_T4_T5_mT6_T7_P12ihipStream_tbENKUlT_T0_E_clISt17integral_constantIbLb0EES15_EEDaS10_S11_EUlS10_E_NS1_11comp_targetILNS1_3genE2ELNS1_11target_archE906ELNS1_3gpuE6ELNS1_3repE0EEENS1_30default_config_static_selectorELNS0_4arch9wavefront6targetE1EEEvT1_
    .private_segment_fixed_size: 0
    .sgpr_count:     4
    .sgpr_spill_count: 0
    .symbol:         _ZN7rocprim17ROCPRIM_400000_NS6detail17trampoline_kernelINS0_14default_configENS1_27scan_by_key_config_selectorImiEEZZNS1_16scan_by_key_implILNS1_25lookback_scan_determinismE0ELb0ES3_N6thrust23THRUST_200600_302600_NS18transform_iteratorI9row_indexNS9_17counting_iteratorImNS9_11use_defaultESD_SD_EESD_SD_EENS9_6detail15normal_iteratorINS9_10device_ptrIiEEEESK_iNS9_4plusIvEENS9_8equal_toIvEEiEE10hipError_tPvRmT2_T3_T4_T5_mT6_T7_P12ihipStream_tbENKUlT_T0_E_clISt17integral_constantIbLb0EES15_EEDaS10_S11_EUlS10_E_NS1_11comp_targetILNS1_3genE2ELNS1_11target_archE906ELNS1_3gpuE6ELNS1_3repE0EEENS1_30default_config_static_selectorELNS0_4arch9wavefront6targetE1EEEvT1_.kd
    .uniform_work_group_size: 1
    .uses_dynamic_stack: false
    .vgpr_count:     0
    .vgpr_spill_count: 0
    .wavefront_size: 64
  - .agpr_count:     0
    .args:
      - .offset:         0
        .size:           120
        .value_kind:     by_value
    .group_segment_fixed_size: 0
    .kernarg_segment_align: 8
    .kernarg_segment_size: 120
    .language:       OpenCL C
    .language_version:
      - 2
      - 0
    .max_flat_workgroup_size: 256
    .name:           _ZN7rocprim17ROCPRIM_400000_NS6detail17trampoline_kernelINS0_14default_configENS1_27scan_by_key_config_selectorImiEEZZNS1_16scan_by_key_implILNS1_25lookback_scan_determinismE0ELb0ES3_N6thrust23THRUST_200600_302600_NS18transform_iteratorI9row_indexNS9_17counting_iteratorImNS9_11use_defaultESD_SD_EESD_SD_EENS9_6detail15normal_iteratorINS9_10device_ptrIiEEEESK_iNS9_4plusIvEENS9_8equal_toIvEEiEE10hipError_tPvRmT2_T3_T4_T5_mT6_T7_P12ihipStream_tbENKUlT_T0_E_clISt17integral_constantIbLb0EES15_EEDaS10_S11_EUlS10_E_NS1_11comp_targetILNS1_3genE10ELNS1_11target_archE1200ELNS1_3gpuE4ELNS1_3repE0EEENS1_30default_config_static_selectorELNS0_4arch9wavefront6targetE1EEEvT1_
    .private_segment_fixed_size: 0
    .sgpr_count:     4
    .sgpr_spill_count: 0
    .symbol:         _ZN7rocprim17ROCPRIM_400000_NS6detail17trampoline_kernelINS0_14default_configENS1_27scan_by_key_config_selectorImiEEZZNS1_16scan_by_key_implILNS1_25lookback_scan_determinismE0ELb0ES3_N6thrust23THRUST_200600_302600_NS18transform_iteratorI9row_indexNS9_17counting_iteratorImNS9_11use_defaultESD_SD_EESD_SD_EENS9_6detail15normal_iteratorINS9_10device_ptrIiEEEESK_iNS9_4plusIvEENS9_8equal_toIvEEiEE10hipError_tPvRmT2_T3_T4_T5_mT6_T7_P12ihipStream_tbENKUlT_T0_E_clISt17integral_constantIbLb0EES15_EEDaS10_S11_EUlS10_E_NS1_11comp_targetILNS1_3genE10ELNS1_11target_archE1200ELNS1_3gpuE4ELNS1_3repE0EEENS1_30default_config_static_selectorELNS0_4arch9wavefront6targetE1EEEvT1_.kd
    .uniform_work_group_size: 1
    .uses_dynamic_stack: false
    .vgpr_count:     0
    .vgpr_spill_count: 0
    .wavefront_size: 64
  - .agpr_count:     0
    .args:
      - .offset:         0
        .size:           120
        .value_kind:     by_value
    .group_segment_fixed_size: 0
    .kernarg_segment_align: 8
    .kernarg_segment_size: 120
    .language:       OpenCL C
    .language_version:
      - 2
      - 0
    .max_flat_workgroup_size: 256
    .name:           _ZN7rocprim17ROCPRIM_400000_NS6detail17trampoline_kernelINS0_14default_configENS1_27scan_by_key_config_selectorImiEEZZNS1_16scan_by_key_implILNS1_25lookback_scan_determinismE0ELb0ES3_N6thrust23THRUST_200600_302600_NS18transform_iteratorI9row_indexNS9_17counting_iteratorImNS9_11use_defaultESD_SD_EESD_SD_EENS9_6detail15normal_iteratorINS9_10device_ptrIiEEEESK_iNS9_4plusIvEENS9_8equal_toIvEEiEE10hipError_tPvRmT2_T3_T4_T5_mT6_T7_P12ihipStream_tbENKUlT_T0_E_clISt17integral_constantIbLb0EES15_EEDaS10_S11_EUlS10_E_NS1_11comp_targetILNS1_3genE9ELNS1_11target_archE1100ELNS1_3gpuE3ELNS1_3repE0EEENS1_30default_config_static_selectorELNS0_4arch9wavefront6targetE1EEEvT1_
    .private_segment_fixed_size: 0
    .sgpr_count:     4
    .sgpr_spill_count: 0
    .symbol:         _ZN7rocprim17ROCPRIM_400000_NS6detail17trampoline_kernelINS0_14default_configENS1_27scan_by_key_config_selectorImiEEZZNS1_16scan_by_key_implILNS1_25lookback_scan_determinismE0ELb0ES3_N6thrust23THRUST_200600_302600_NS18transform_iteratorI9row_indexNS9_17counting_iteratorImNS9_11use_defaultESD_SD_EESD_SD_EENS9_6detail15normal_iteratorINS9_10device_ptrIiEEEESK_iNS9_4plusIvEENS9_8equal_toIvEEiEE10hipError_tPvRmT2_T3_T4_T5_mT6_T7_P12ihipStream_tbENKUlT_T0_E_clISt17integral_constantIbLb0EES15_EEDaS10_S11_EUlS10_E_NS1_11comp_targetILNS1_3genE9ELNS1_11target_archE1100ELNS1_3gpuE3ELNS1_3repE0EEENS1_30default_config_static_selectorELNS0_4arch9wavefront6targetE1EEEvT1_.kd
    .uniform_work_group_size: 1
    .uses_dynamic_stack: false
    .vgpr_count:     0
    .vgpr_spill_count: 0
    .wavefront_size: 64
  - .agpr_count:     0
    .args:
      - .offset:         0
        .size:           120
        .value_kind:     by_value
    .group_segment_fixed_size: 0
    .kernarg_segment_align: 8
    .kernarg_segment_size: 120
    .language:       OpenCL C
    .language_version:
      - 2
      - 0
    .max_flat_workgroup_size: 256
    .name:           _ZN7rocprim17ROCPRIM_400000_NS6detail17trampoline_kernelINS0_14default_configENS1_27scan_by_key_config_selectorImiEEZZNS1_16scan_by_key_implILNS1_25lookback_scan_determinismE0ELb0ES3_N6thrust23THRUST_200600_302600_NS18transform_iteratorI9row_indexNS9_17counting_iteratorImNS9_11use_defaultESD_SD_EESD_SD_EENS9_6detail15normal_iteratorINS9_10device_ptrIiEEEESK_iNS9_4plusIvEENS9_8equal_toIvEEiEE10hipError_tPvRmT2_T3_T4_T5_mT6_T7_P12ihipStream_tbENKUlT_T0_E_clISt17integral_constantIbLb0EES15_EEDaS10_S11_EUlS10_E_NS1_11comp_targetILNS1_3genE8ELNS1_11target_archE1030ELNS1_3gpuE2ELNS1_3repE0EEENS1_30default_config_static_selectorELNS0_4arch9wavefront6targetE1EEEvT1_
    .private_segment_fixed_size: 0
    .sgpr_count:     4
    .sgpr_spill_count: 0
    .symbol:         _ZN7rocprim17ROCPRIM_400000_NS6detail17trampoline_kernelINS0_14default_configENS1_27scan_by_key_config_selectorImiEEZZNS1_16scan_by_key_implILNS1_25lookback_scan_determinismE0ELb0ES3_N6thrust23THRUST_200600_302600_NS18transform_iteratorI9row_indexNS9_17counting_iteratorImNS9_11use_defaultESD_SD_EESD_SD_EENS9_6detail15normal_iteratorINS9_10device_ptrIiEEEESK_iNS9_4plusIvEENS9_8equal_toIvEEiEE10hipError_tPvRmT2_T3_T4_T5_mT6_T7_P12ihipStream_tbENKUlT_T0_E_clISt17integral_constantIbLb0EES15_EEDaS10_S11_EUlS10_E_NS1_11comp_targetILNS1_3genE8ELNS1_11target_archE1030ELNS1_3gpuE2ELNS1_3repE0EEENS1_30default_config_static_selectorELNS0_4arch9wavefront6targetE1EEEvT1_.kd
    .uniform_work_group_size: 1
    .uses_dynamic_stack: false
    .vgpr_count:     0
    .vgpr_spill_count: 0
    .wavefront_size: 64
  - .agpr_count:     0
    .args:
      - .address_space:  global
        .offset:         0
        .size:           8
        .value_kind:     global_buffer
      - .offset:         8
        .size:           4
        .value_kind:     by_value
      - .offset:         12
        .size:           4
        .value_kind:     by_value
      - .address_space:  global
        .offset:         16
        .size:           8
        .value_kind:     global_buffer
      - .offset:         24
        .size:           16
        .value_kind:     by_value
      - .actual_access:  write_only
        .address_space:  global
        .offset:         40
        .size:           8
        .value_kind:     global_buffer
      - .offset:         48
        .size:           8
        .value_kind:     by_value
      - .offset:         56
        .size:           4
        .value_kind:     by_value
      - .address_space:  global
        .offset:         64
        .size:           8
        .value_kind:     global_buffer
      - .offset:         72
        .size:           4
        .value_kind:     hidden_block_count_x
      - .offset:         76
        .size:           4
        .value_kind:     hidden_block_count_y
      - .offset:         80
        .size:           4
        .value_kind:     hidden_block_count_z
      - .offset:         84
        .size:           2
        .value_kind:     hidden_group_size_x
      - .offset:         86
        .size:           2
        .value_kind:     hidden_group_size_y
      - .offset:         88
        .size:           2
        .value_kind:     hidden_group_size_z
      - .offset:         90
        .size:           2
        .value_kind:     hidden_remainder_x
      - .offset:         92
        .size:           2
        .value_kind:     hidden_remainder_y
      - .offset:         94
        .size:           2
        .value_kind:     hidden_remainder_z
      - .offset:         112
        .size:           8
        .value_kind:     hidden_global_offset_x
      - .offset:         120
        .size:           8
        .value_kind:     hidden_global_offset_y
      - .offset:         128
        .size:           8
        .value_kind:     hidden_global_offset_z
      - .offset:         136
        .size:           2
        .value_kind:     hidden_grid_dims
    .group_segment_fixed_size: 0
    .kernarg_segment_align: 8
    .kernarg_segment_size: 328
    .language:       OpenCL C
    .language_version:
      - 2
      - 0
    .max_flat_workgroup_size: 256
    .name:           _ZN7rocprim17ROCPRIM_400000_NS6detail30init_device_scan_by_key_kernelINS1_19lookback_scan_stateINS0_5tupleIJibEEELb1ELb1EEEN6thrust23THRUST_200600_302600_NS18transform_iteratorI9row_indexNS8_17counting_iteratorImNS8_11use_defaultESC_SC_EESC_SC_EEjNS1_16block_id_wrapperIjLb1EEEEEvT_jjPNSH_10value_typeET0_PNSt15iterator_traitsISK_E10value_typeEmT1_T2_
    .private_segment_fixed_size: 0
    .sgpr_count:     24
    .sgpr_spill_count: 0
    .symbol:         _ZN7rocprim17ROCPRIM_400000_NS6detail30init_device_scan_by_key_kernelINS1_19lookback_scan_stateINS0_5tupleIJibEEELb1ELb1EEEN6thrust23THRUST_200600_302600_NS18transform_iteratorI9row_indexNS8_17counting_iteratorImNS8_11use_defaultESC_SC_EESC_SC_EEjNS1_16block_id_wrapperIjLb1EEEEEvT_jjPNSH_10value_typeET0_PNSt15iterator_traitsISK_E10value_typeEmT1_T2_.kd
    .uniform_work_group_size: 1
    .uses_dynamic_stack: false
    .vgpr_count:     19
    .vgpr_spill_count: 0
    .wavefront_size: 64
  - .agpr_count:     0
    .args:
      - .address_space:  global
        .offset:         0
        .size:           8
        .value_kind:     global_buffer
      - .offset:         8
        .size:           4
        .value_kind:     by_value
      - .offset:         12
        .size:           4
        .value_kind:     by_value
      - .address_space:  global
        .offset:         16
        .size:           8
        .value_kind:     global_buffer
      - .address_space:  global
        .offset:         24
        .size:           8
        .value_kind:     global_buffer
      - .offset:         32
        .size:           4
        .value_kind:     hidden_block_count_x
      - .offset:         36
        .size:           4
        .value_kind:     hidden_block_count_y
      - .offset:         40
        .size:           4
        .value_kind:     hidden_block_count_z
      - .offset:         44
        .size:           2
        .value_kind:     hidden_group_size_x
      - .offset:         46
        .size:           2
        .value_kind:     hidden_group_size_y
      - .offset:         48
        .size:           2
        .value_kind:     hidden_group_size_z
      - .offset:         50
        .size:           2
        .value_kind:     hidden_remainder_x
      - .offset:         52
        .size:           2
        .value_kind:     hidden_remainder_y
      - .offset:         54
        .size:           2
        .value_kind:     hidden_remainder_z
      - .offset:         72
        .size:           8
        .value_kind:     hidden_global_offset_x
      - .offset:         80
        .size:           8
        .value_kind:     hidden_global_offset_y
      - .offset:         88
        .size:           8
        .value_kind:     hidden_global_offset_z
      - .offset:         96
        .size:           2
        .value_kind:     hidden_grid_dims
    .group_segment_fixed_size: 0
    .kernarg_segment_align: 8
    .kernarg_segment_size: 288
    .language:       OpenCL C
    .language_version:
      - 2
      - 0
    .max_flat_workgroup_size: 256
    .name:           _ZN7rocprim17ROCPRIM_400000_NS6detail30init_device_scan_by_key_kernelINS1_19lookback_scan_stateINS0_5tupleIJibEEELb1ELb1EEENS1_16block_id_wrapperIjLb1EEEEEvT_jjPNS9_10value_typeET0_
    .private_segment_fixed_size: 0
    .sgpr_count:     20
    .sgpr_spill_count: 0
    .symbol:         _ZN7rocprim17ROCPRIM_400000_NS6detail30init_device_scan_by_key_kernelINS1_19lookback_scan_stateINS0_5tupleIJibEEELb1ELb1EEENS1_16block_id_wrapperIjLb1EEEEEvT_jjPNS9_10value_typeET0_.kd
    .uniform_work_group_size: 1
    .uses_dynamic_stack: false
    .vgpr_count:     10
    .vgpr_spill_count: 0
    .wavefront_size: 64
  - .agpr_count:     0
    .args:
      - .offset:         0
        .size:           120
        .value_kind:     by_value
    .group_segment_fixed_size: 0
    .kernarg_segment_align: 8
    .kernarg_segment_size: 120
    .language:       OpenCL C
    .language_version:
      - 2
      - 0
    .max_flat_workgroup_size: 256
    .name:           _ZN7rocprim17ROCPRIM_400000_NS6detail17trampoline_kernelINS0_14default_configENS1_27scan_by_key_config_selectorImiEEZZNS1_16scan_by_key_implILNS1_25lookback_scan_determinismE0ELb0ES3_N6thrust23THRUST_200600_302600_NS18transform_iteratorI9row_indexNS9_17counting_iteratorImNS9_11use_defaultESD_SD_EESD_SD_EENS9_6detail15normal_iteratorINS9_10device_ptrIiEEEESK_iNS9_4plusIvEENS9_8equal_toIvEEiEE10hipError_tPvRmT2_T3_T4_T5_mT6_T7_P12ihipStream_tbENKUlT_T0_E_clISt17integral_constantIbLb1EES15_EEDaS10_S11_EUlS10_E_NS1_11comp_targetILNS1_3genE0ELNS1_11target_archE4294967295ELNS1_3gpuE0ELNS1_3repE0EEENS1_30default_config_static_selectorELNS0_4arch9wavefront6targetE1EEEvT1_
    .private_segment_fixed_size: 0
    .sgpr_count:     4
    .sgpr_spill_count: 0
    .symbol:         _ZN7rocprim17ROCPRIM_400000_NS6detail17trampoline_kernelINS0_14default_configENS1_27scan_by_key_config_selectorImiEEZZNS1_16scan_by_key_implILNS1_25lookback_scan_determinismE0ELb0ES3_N6thrust23THRUST_200600_302600_NS18transform_iteratorI9row_indexNS9_17counting_iteratorImNS9_11use_defaultESD_SD_EESD_SD_EENS9_6detail15normal_iteratorINS9_10device_ptrIiEEEESK_iNS9_4plusIvEENS9_8equal_toIvEEiEE10hipError_tPvRmT2_T3_T4_T5_mT6_T7_P12ihipStream_tbENKUlT_T0_E_clISt17integral_constantIbLb1EES15_EEDaS10_S11_EUlS10_E_NS1_11comp_targetILNS1_3genE0ELNS1_11target_archE4294967295ELNS1_3gpuE0ELNS1_3repE0EEENS1_30default_config_static_selectorELNS0_4arch9wavefront6targetE1EEEvT1_.kd
    .uniform_work_group_size: 1
    .uses_dynamic_stack: false
    .vgpr_count:     0
    .vgpr_spill_count: 0
    .wavefront_size: 64
  - .agpr_count:     0
    .args:
      - .offset:         0
        .size:           120
        .value_kind:     by_value
    .group_segment_fixed_size: 0
    .kernarg_segment_align: 8
    .kernarg_segment_size: 120
    .language:       OpenCL C
    .language_version:
      - 2
      - 0
    .max_flat_workgroup_size: 256
    .name:           _ZN7rocprim17ROCPRIM_400000_NS6detail17trampoline_kernelINS0_14default_configENS1_27scan_by_key_config_selectorImiEEZZNS1_16scan_by_key_implILNS1_25lookback_scan_determinismE0ELb0ES3_N6thrust23THRUST_200600_302600_NS18transform_iteratorI9row_indexNS9_17counting_iteratorImNS9_11use_defaultESD_SD_EESD_SD_EENS9_6detail15normal_iteratorINS9_10device_ptrIiEEEESK_iNS9_4plusIvEENS9_8equal_toIvEEiEE10hipError_tPvRmT2_T3_T4_T5_mT6_T7_P12ihipStream_tbENKUlT_T0_E_clISt17integral_constantIbLb1EES15_EEDaS10_S11_EUlS10_E_NS1_11comp_targetILNS1_3genE10ELNS1_11target_archE1201ELNS1_3gpuE5ELNS1_3repE0EEENS1_30default_config_static_selectorELNS0_4arch9wavefront6targetE1EEEvT1_
    .private_segment_fixed_size: 0
    .sgpr_count:     4
    .sgpr_spill_count: 0
    .symbol:         _ZN7rocprim17ROCPRIM_400000_NS6detail17trampoline_kernelINS0_14default_configENS1_27scan_by_key_config_selectorImiEEZZNS1_16scan_by_key_implILNS1_25lookback_scan_determinismE0ELb0ES3_N6thrust23THRUST_200600_302600_NS18transform_iteratorI9row_indexNS9_17counting_iteratorImNS9_11use_defaultESD_SD_EESD_SD_EENS9_6detail15normal_iteratorINS9_10device_ptrIiEEEESK_iNS9_4plusIvEENS9_8equal_toIvEEiEE10hipError_tPvRmT2_T3_T4_T5_mT6_T7_P12ihipStream_tbENKUlT_T0_E_clISt17integral_constantIbLb1EES15_EEDaS10_S11_EUlS10_E_NS1_11comp_targetILNS1_3genE10ELNS1_11target_archE1201ELNS1_3gpuE5ELNS1_3repE0EEENS1_30default_config_static_selectorELNS0_4arch9wavefront6targetE1EEEvT1_.kd
    .uniform_work_group_size: 1
    .uses_dynamic_stack: false
    .vgpr_count:     0
    .vgpr_spill_count: 0
    .wavefront_size: 64
  - .agpr_count:     0
    .args:
      - .offset:         0
        .size:           120
        .value_kind:     by_value
    .group_segment_fixed_size: 0
    .kernarg_segment_align: 8
    .kernarg_segment_size: 120
    .language:       OpenCL C
    .language_version:
      - 2
      - 0
    .max_flat_workgroup_size: 256
    .name:           _ZN7rocprim17ROCPRIM_400000_NS6detail17trampoline_kernelINS0_14default_configENS1_27scan_by_key_config_selectorImiEEZZNS1_16scan_by_key_implILNS1_25lookback_scan_determinismE0ELb0ES3_N6thrust23THRUST_200600_302600_NS18transform_iteratorI9row_indexNS9_17counting_iteratorImNS9_11use_defaultESD_SD_EESD_SD_EENS9_6detail15normal_iteratorINS9_10device_ptrIiEEEESK_iNS9_4plusIvEENS9_8equal_toIvEEiEE10hipError_tPvRmT2_T3_T4_T5_mT6_T7_P12ihipStream_tbENKUlT_T0_E_clISt17integral_constantIbLb1EES15_EEDaS10_S11_EUlS10_E_NS1_11comp_targetILNS1_3genE5ELNS1_11target_archE942ELNS1_3gpuE9ELNS1_3repE0EEENS1_30default_config_static_selectorELNS0_4arch9wavefront6targetE1EEEvT1_
    .private_segment_fixed_size: 0
    .sgpr_count:     4
    .sgpr_spill_count: 0
    .symbol:         _ZN7rocprim17ROCPRIM_400000_NS6detail17trampoline_kernelINS0_14default_configENS1_27scan_by_key_config_selectorImiEEZZNS1_16scan_by_key_implILNS1_25lookback_scan_determinismE0ELb0ES3_N6thrust23THRUST_200600_302600_NS18transform_iteratorI9row_indexNS9_17counting_iteratorImNS9_11use_defaultESD_SD_EESD_SD_EENS9_6detail15normal_iteratorINS9_10device_ptrIiEEEESK_iNS9_4plusIvEENS9_8equal_toIvEEiEE10hipError_tPvRmT2_T3_T4_T5_mT6_T7_P12ihipStream_tbENKUlT_T0_E_clISt17integral_constantIbLb1EES15_EEDaS10_S11_EUlS10_E_NS1_11comp_targetILNS1_3genE5ELNS1_11target_archE942ELNS1_3gpuE9ELNS1_3repE0EEENS1_30default_config_static_selectorELNS0_4arch9wavefront6targetE1EEEvT1_.kd
    .uniform_work_group_size: 1
    .uses_dynamic_stack: false
    .vgpr_count:     0
    .vgpr_spill_count: 0
    .wavefront_size: 64
  - .agpr_count:     0
    .args:
      - .offset:         0
        .size:           120
        .value_kind:     by_value
    .group_segment_fixed_size: 32768
    .kernarg_segment_align: 8
    .kernarg_segment_size: 120
    .language:       OpenCL C
    .language_version:
      - 2
      - 0
    .max_flat_workgroup_size: 256
    .name:           _ZN7rocprim17ROCPRIM_400000_NS6detail17trampoline_kernelINS0_14default_configENS1_27scan_by_key_config_selectorImiEEZZNS1_16scan_by_key_implILNS1_25lookback_scan_determinismE0ELb0ES3_N6thrust23THRUST_200600_302600_NS18transform_iteratorI9row_indexNS9_17counting_iteratorImNS9_11use_defaultESD_SD_EESD_SD_EENS9_6detail15normal_iteratorINS9_10device_ptrIiEEEESK_iNS9_4plusIvEENS9_8equal_toIvEEiEE10hipError_tPvRmT2_T3_T4_T5_mT6_T7_P12ihipStream_tbENKUlT_T0_E_clISt17integral_constantIbLb1EES15_EEDaS10_S11_EUlS10_E_NS1_11comp_targetILNS1_3genE4ELNS1_11target_archE910ELNS1_3gpuE8ELNS1_3repE0EEENS1_30default_config_static_selectorELNS0_4arch9wavefront6targetE1EEEvT1_
    .private_segment_fixed_size: 0
    .sgpr_count:     80
    .sgpr_spill_count: 0
    .symbol:         _ZN7rocprim17ROCPRIM_400000_NS6detail17trampoline_kernelINS0_14default_configENS1_27scan_by_key_config_selectorImiEEZZNS1_16scan_by_key_implILNS1_25lookback_scan_determinismE0ELb0ES3_N6thrust23THRUST_200600_302600_NS18transform_iteratorI9row_indexNS9_17counting_iteratorImNS9_11use_defaultESD_SD_EESD_SD_EENS9_6detail15normal_iteratorINS9_10device_ptrIiEEEESK_iNS9_4plusIvEENS9_8equal_toIvEEiEE10hipError_tPvRmT2_T3_T4_T5_mT6_T7_P12ihipStream_tbENKUlT_T0_E_clISt17integral_constantIbLb1EES15_EEDaS10_S11_EUlS10_E_NS1_11comp_targetILNS1_3genE4ELNS1_11target_archE910ELNS1_3gpuE8ELNS1_3repE0EEENS1_30default_config_static_selectorELNS0_4arch9wavefront6targetE1EEEvT1_.kd
    .uniform_work_group_size: 1
    .uses_dynamic_stack: false
    .vgpr_count:     65
    .vgpr_spill_count: 0
    .wavefront_size: 64
  - .agpr_count:     0
    .args:
      - .offset:         0
        .size:           120
        .value_kind:     by_value
    .group_segment_fixed_size: 0
    .kernarg_segment_align: 8
    .kernarg_segment_size: 120
    .language:       OpenCL C
    .language_version:
      - 2
      - 0
    .max_flat_workgroup_size: 256
    .name:           _ZN7rocprim17ROCPRIM_400000_NS6detail17trampoline_kernelINS0_14default_configENS1_27scan_by_key_config_selectorImiEEZZNS1_16scan_by_key_implILNS1_25lookback_scan_determinismE0ELb0ES3_N6thrust23THRUST_200600_302600_NS18transform_iteratorI9row_indexNS9_17counting_iteratorImNS9_11use_defaultESD_SD_EESD_SD_EENS9_6detail15normal_iteratorINS9_10device_ptrIiEEEESK_iNS9_4plusIvEENS9_8equal_toIvEEiEE10hipError_tPvRmT2_T3_T4_T5_mT6_T7_P12ihipStream_tbENKUlT_T0_E_clISt17integral_constantIbLb1EES15_EEDaS10_S11_EUlS10_E_NS1_11comp_targetILNS1_3genE3ELNS1_11target_archE908ELNS1_3gpuE7ELNS1_3repE0EEENS1_30default_config_static_selectorELNS0_4arch9wavefront6targetE1EEEvT1_
    .private_segment_fixed_size: 0
    .sgpr_count:     4
    .sgpr_spill_count: 0
    .symbol:         _ZN7rocprim17ROCPRIM_400000_NS6detail17trampoline_kernelINS0_14default_configENS1_27scan_by_key_config_selectorImiEEZZNS1_16scan_by_key_implILNS1_25lookback_scan_determinismE0ELb0ES3_N6thrust23THRUST_200600_302600_NS18transform_iteratorI9row_indexNS9_17counting_iteratorImNS9_11use_defaultESD_SD_EESD_SD_EENS9_6detail15normal_iteratorINS9_10device_ptrIiEEEESK_iNS9_4plusIvEENS9_8equal_toIvEEiEE10hipError_tPvRmT2_T3_T4_T5_mT6_T7_P12ihipStream_tbENKUlT_T0_E_clISt17integral_constantIbLb1EES15_EEDaS10_S11_EUlS10_E_NS1_11comp_targetILNS1_3genE3ELNS1_11target_archE908ELNS1_3gpuE7ELNS1_3repE0EEENS1_30default_config_static_selectorELNS0_4arch9wavefront6targetE1EEEvT1_.kd
    .uniform_work_group_size: 1
    .uses_dynamic_stack: false
    .vgpr_count:     0
    .vgpr_spill_count: 0
    .wavefront_size: 64
  - .agpr_count:     0
    .args:
      - .offset:         0
        .size:           120
        .value_kind:     by_value
    .group_segment_fixed_size: 0
    .kernarg_segment_align: 8
    .kernarg_segment_size: 120
    .language:       OpenCL C
    .language_version:
      - 2
      - 0
    .max_flat_workgroup_size: 256
    .name:           _ZN7rocprim17ROCPRIM_400000_NS6detail17trampoline_kernelINS0_14default_configENS1_27scan_by_key_config_selectorImiEEZZNS1_16scan_by_key_implILNS1_25lookback_scan_determinismE0ELb0ES3_N6thrust23THRUST_200600_302600_NS18transform_iteratorI9row_indexNS9_17counting_iteratorImNS9_11use_defaultESD_SD_EESD_SD_EENS9_6detail15normal_iteratorINS9_10device_ptrIiEEEESK_iNS9_4plusIvEENS9_8equal_toIvEEiEE10hipError_tPvRmT2_T3_T4_T5_mT6_T7_P12ihipStream_tbENKUlT_T0_E_clISt17integral_constantIbLb1EES15_EEDaS10_S11_EUlS10_E_NS1_11comp_targetILNS1_3genE2ELNS1_11target_archE906ELNS1_3gpuE6ELNS1_3repE0EEENS1_30default_config_static_selectorELNS0_4arch9wavefront6targetE1EEEvT1_
    .private_segment_fixed_size: 0
    .sgpr_count:     4
    .sgpr_spill_count: 0
    .symbol:         _ZN7rocprim17ROCPRIM_400000_NS6detail17trampoline_kernelINS0_14default_configENS1_27scan_by_key_config_selectorImiEEZZNS1_16scan_by_key_implILNS1_25lookback_scan_determinismE0ELb0ES3_N6thrust23THRUST_200600_302600_NS18transform_iteratorI9row_indexNS9_17counting_iteratorImNS9_11use_defaultESD_SD_EESD_SD_EENS9_6detail15normal_iteratorINS9_10device_ptrIiEEEESK_iNS9_4plusIvEENS9_8equal_toIvEEiEE10hipError_tPvRmT2_T3_T4_T5_mT6_T7_P12ihipStream_tbENKUlT_T0_E_clISt17integral_constantIbLb1EES15_EEDaS10_S11_EUlS10_E_NS1_11comp_targetILNS1_3genE2ELNS1_11target_archE906ELNS1_3gpuE6ELNS1_3repE0EEENS1_30default_config_static_selectorELNS0_4arch9wavefront6targetE1EEEvT1_.kd
    .uniform_work_group_size: 1
    .uses_dynamic_stack: false
    .vgpr_count:     0
    .vgpr_spill_count: 0
    .wavefront_size: 64
  - .agpr_count:     0
    .args:
      - .offset:         0
        .size:           120
        .value_kind:     by_value
    .group_segment_fixed_size: 0
    .kernarg_segment_align: 8
    .kernarg_segment_size: 120
    .language:       OpenCL C
    .language_version:
      - 2
      - 0
    .max_flat_workgroup_size: 256
    .name:           _ZN7rocprim17ROCPRIM_400000_NS6detail17trampoline_kernelINS0_14default_configENS1_27scan_by_key_config_selectorImiEEZZNS1_16scan_by_key_implILNS1_25lookback_scan_determinismE0ELb0ES3_N6thrust23THRUST_200600_302600_NS18transform_iteratorI9row_indexNS9_17counting_iteratorImNS9_11use_defaultESD_SD_EESD_SD_EENS9_6detail15normal_iteratorINS9_10device_ptrIiEEEESK_iNS9_4plusIvEENS9_8equal_toIvEEiEE10hipError_tPvRmT2_T3_T4_T5_mT6_T7_P12ihipStream_tbENKUlT_T0_E_clISt17integral_constantIbLb1EES15_EEDaS10_S11_EUlS10_E_NS1_11comp_targetILNS1_3genE10ELNS1_11target_archE1200ELNS1_3gpuE4ELNS1_3repE0EEENS1_30default_config_static_selectorELNS0_4arch9wavefront6targetE1EEEvT1_
    .private_segment_fixed_size: 0
    .sgpr_count:     4
    .sgpr_spill_count: 0
    .symbol:         _ZN7rocprim17ROCPRIM_400000_NS6detail17trampoline_kernelINS0_14default_configENS1_27scan_by_key_config_selectorImiEEZZNS1_16scan_by_key_implILNS1_25lookback_scan_determinismE0ELb0ES3_N6thrust23THRUST_200600_302600_NS18transform_iteratorI9row_indexNS9_17counting_iteratorImNS9_11use_defaultESD_SD_EESD_SD_EENS9_6detail15normal_iteratorINS9_10device_ptrIiEEEESK_iNS9_4plusIvEENS9_8equal_toIvEEiEE10hipError_tPvRmT2_T3_T4_T5_mT6_T7_P12ihipStream_tbENKUlT_T0_E_clISt17integral_constantIbLb1EES15_EEDaS10_S11_EUlS10_E_NS1_11comp_targetILNS1_3genE10ELNS1_11target_archE1200ELNS1_3gpuE4ELNS1_3repE0EEENS1_30default_config_static_selectorELNS0_4arch9wavefront6targetE1EEEvT1_.kd
    .uniform_work_group_size: 1
    .uses_dynamic_stack: false
    .vgpr_count:     0
    .vgpr_spill_count: 0
    .wavefront_size: 64
  - .agpr_count:     0
    .args:
      - .offset:         0
        .size:           120
        .value_kind:     by_value
    .group_segment_fixed_size: 0
    .kernarg_segment_align: 8
    .kernarg_segment_size: 120
    .language:       OpenCL C
    .language_version:
      - 2
      - 0
    .max_flat_workgroup_size: 256
    .name:           _ZN7rocprim17ROCPRIM_400000_NS6detail17trampoline_kernelINS0_14default_configENS1_27scan_by_key_config_selectorImiEEZZNS1_16scan_by_key_implILNS1_25lookback_scan_determinismE0ELb0ES3_N6thrust23THRUST_200600_302600_NS18transform_iteratorI9row_indexNS9_17counting_iteratorImNS9_11use_defaultESD_SD_EESD_SD_EENS9_6detail15normal_iteratorINS9_10device_ptrIiEEEESK_iNS9_4plusIvEENS9_8equal_toIvEEiEE10hipError_tPvRmT2_T3_T4_T5_mT6_T7_P12ihipStream_tbENKUlT_T0_E_clISt17integral_constantIbLb1EES15_EEDaS10_S11_EUlS10_E_NS1_11comp_targetILNS1_3genE9ELNS1_11target_archE1100ELNS1_3gpuE3ELNS1_3repE0EEENS1_30default_config_static_selectorELNS0_4arch9wavefront6targetE1EEEvT1_
    .private_segment_fixed_size: 0
    .sgpr_count:     4
    .sgpr_spill_count: 0
    .symbol:         _ZN7rocprim17ROCPRIM_400000_NS6detail17trampoline_kernelINS0_14default_configENS1_27scan_by_key_config_selectorImiEEZZNS1_16scan_by_key_implILNS1_25lookback_scan_determinismE0ELb0ES3_N6thrust23THRUST_200600_302600_NS18transform_iteratorI9row_indexNS9_17counting_iteratorImNS9_11use_defaultESD_SD_EESD_SD_EENS9_6detail15normal_iteratorINS9_10device_ptrIiEEEESK_iNS9_4plusIvEENS9_8equal_toIvEEiEE10hipError_tPvRmT2_T3_T4_T5_mT6_T7_P12ihipStream_tbENKUlT_T0_E_clISt17integral_constantIbLb1EES15_EEDaS10_S11_EUlS10_E_NS1_11comp_targetILNS1_3genE9ELNS1_11target_archE1100ELNS1_3gpuE3ELNS1_3repE0EEENS1_30default_config_static_selectorELNS0_4arch9wavefront6targetE1EEEvT1_.kd
    .uniform_work_group_size: 1
    .uses_dynamic_stack: false
    .vgpr_count:     0
    .vgpr_spill_count: 0
    .wavefront_size: 64
  - .agpr_count:     0
    .args:
      - .offset:         0
        .size:           120
        .value_kind:     by_value
    .group_segment_fixed_size: 0
    .kernarg_segment_align: 8
    .kernarg_segment_size: 120
    .language:       OpenCL C
    .language_version:
      - 2
      - 0
    .max_flat_workgroup_size: 256
    .name:           _ZN7rocprim17ROCPRIM_400000_NS6detail17trampoline_kernelINS0_14default_configENS1_27scan_by_key_config_selectorImiEEZZNS1_16scan_by_key_implILNS1_25lookback_scan_determinismE0ELb0ES3_N6thrust23THRUST_200600_302600_NS18transform_iteratorI9row_indexNS9_17counting_iteratorImNS9_11use_defaultESD_SD_EESD_SD_EENS9_6detail15normal_iteratorINS9_10device_ptrIiEEEESK_iNS9_4plusIvEENS9_8equal_toIvEEiEE10hipError_tPvRmT2_T3_T4_T5_mT6_T7_P12ihipStream_tbENKUlT_T0_E_clISt17integral_constantIbLb1EES15_EEDaS10_S11_EUlS10_E_NS1_11comp_targetILNS1_3genE8ELNS1_11target_archE1030ELNS1_3gpuE2ELNS1_3repE0EEENS1_30default_config_static_selectorELNS0_4arch9wavefront6targetE1EEEvT1_
    .private_segment_fixed_size: 0
    .sgpr_count:     4
    .sgpr_spill_count: 0
    .symbol:         _ZN7rocprim17ROCPRIM_400000_NS6detail17trampoline_kernelINS0_14default_configENS1_27scan_by_key_config_selectorImiEEZZNS1_16scan_by_key_implILNS1_25lookback_scan_determinismE0ELb0ES3_N6thrust23THRUST_200600_302600_NS18transform_iteratorI9row_indexNS9_17counting_iteratorImNS9_11use_defaultESD_SD_EESD_SD_EENS9_6detail15normal_iteratorINS9_10device_ptrIiEEEESK_iNS9_4plusIvEENS9_8equal_toIvEEiEE10hipError_tPvRmT2_T3_T4_T5_mT6_T7_P12ihipStream_tbENKUlT_T0_E_clISt17integral_constantIbLb1EES15_EEDaS10_S11_EUlS10_E_NS1_11comp_targetILNS1_3genE8ELNS1_11target_archE1030ELNS1_3gpuE2ELNS1_3repE0EEENS1_30default_config_static_selectorELNS0_4arch9wavefront6targetE1EEEvT1_.kd
    .uniform_work_group_size: 1
    .uses_dynamic_stack: false
    .vgpr_count:     0
    .vgpr_spill_count: 0
    .wavefront_size: 64
  - .agpr_count:     0
    .args:
      - .address_space:  global
        .offset:         0
        .size:           8
        .value_kind:     global_buffer
      - .offset:         8
        .size:           4
        .value_kind:     by_value
      - .offset:         12
        .size:           4
        .value_kind:     by_value
      - .address_space:  global
        .offset:         16
        .size:           8
        .value_kind:     global_buffer
      - .offset:         24
        .size:           16
        .value_kind:     by_value
      - .actual_access:  write_only
        .address_space:  global
        .offset:         40
        .size:           8
        .value_kind:     global_buffer
      - .offset:         48
        .size:           8
        .value_kind:     by_value
      - .offset:         56
        .size:           4
        .value_kind:     by_value
      - .offset:         60
        .size:           1
        .value_kind:     by_value
      - .offset:         64
        .size:           4
        .value_kind:     hidden_block_count_x
      - .offset:         68
        .size:           4
        .value_kind:     hidden_block_count_y
      - .offset:         72
        .size:           4
        .value_kind:     hidden_block_count_z
      - .offset:         76
        .size:           2
        .value_kind:     hidden_group_size_x
      - .offset:         78
        .size:           2
        .value_kind:     hidden_group_size_y
      - .offset:         80
        .size:           2
        .value_kind:     hidden_group_size_z
      - .offset:         82
        .size:           2
        .value_kind:     hidden_remainder_x
      - .offset:         84
        .size:           2
        .value_kind:     hidden_remainder_y
      - .offset:         86
        .size:           2
        .value_kind:     hidden_remainder_z
      - .offset:         104
        .size:           8
        .value_kind:     hidden_global_offset_x
      - .offset:         112
        .size:           8
        .value_kind:     hidden_global_offset_y
      - .offset:         120
        .size:           8
        .value_kind:     hidden_global_offset_z
      - .offset:         128
        .size:           2
        .value_kind:     hidden_grid_dims
    .group_segment_fixed_size: 0
    .kernarg_segment_align: 8
    .kernarg_segment_size: 320
    .language:       OpenCL C
    .language_version:
      - 2
      - 0
    .max_flat_workgroup_size: 256
    .name:           _ZN7rocprim17ROCPRIM_400000_NS6detail30init_device_scan_by_key_kernelINS1_19lookback_scan_stateINS0_5tupleIJibEEELb1ELb1EEEN6thrust23THRUST_200600_302600_NS18transform_iteratorI9row_indexNS8_17counting_iteratorImNS8_11use_defaultESC_SC_EESC_SC_EEjNS1_16block_id_wrapperIjLb0EEEEEvT_jjPNSH_10value_typeET0_PNSt15iterator_traitsISK_E10value_typeEmT1_T2_
    .private_segment_fixed_size: 0
    .sgpr_count:     24
    .sgpr_spill_count: 0
    .symbol:         _ZN7rocprim17ROCPRIM_400000_NS6detail30init_device_scan_by_key_kernelINS1_19lookback_scan_stateINS0_5tupleIJibEEELb1ELb1EEEN6thrust23THRUST_200600_302600_NS18transform_iteratorI9row_indexNS8_17counting_iteratorImNS8_11use_defaultESC_SC_EESC_SC_EEjNS1_16block_id_wrapperIjLb0EEEEEvT_jjPNSH_10value_typeET0_PNSt15iterator_traitsISK_E10value_typeEmT1_T2_.kd
    .uniform_work_group_size: 1
    .uses_dynamic_stack: false
    .vgpr_count:     19
    .vgpr_spill_count: 0
    .wavefront_size: 64
  - .agpr_count:     0
    .args:
      - .address_space:  global
        .offset:         0
        .size:           8
        .value_kind:     global_buffer
      - .offset:         8
        .size:           4
        .value_kind:     by_value
      - .offset:         12
        .size:           4
        .value_kind:     by_value
      - .address_space:  global
        .offset:         16
        .size:           8
        .value_kind:     global_buffer
      - .offset:         24
        .size:           1
        .value_kind:     by_value
      - .offset:         32
        .size:           4
        .value_kind:     hidden_block_count_x
      - .offset:         36
        .size:           4
        .value_kind:     hidden_block_count_y
      - .offset:         40
        .size:           4
        .value_kind:     hidden_block_count_z
      - .offset:         44
        .size:           2
        .value_kind:     hidden_group_size_x
      - .offset:         46
        .size:           2
        .value_kind:     hidden_group_size_y
      - .offset:         48
        .size:           2
        .value_kind:     hidden_group_size_z
      - .offset:         50
        .size:           2
        .value_kind:     hidden_remainder_x
      - .offset:         52
        .size:           2
        .value_kind:     hidden_remainder_y
      - .offset:         54
        .size:           2
        .value_kind:     hidden_remainder_z
      - .offset:         72
        .size:           8
        .value_kind:     hidden_global_offset_x
      - .offset:         80
        .size:           8
        .value_kind:     hidden_global_offset_y
      - .offset:         88
        .size:           8
        .value_kind:     hidden_global_offset_z
      - .offset:         96
        .size:           2
        .value_kind:     hidden_grid_dims
    .group_segment_fixed_size: 0
    .kernarg_segment_align: 8
    .kernarg_segment_size: 288
    .language:       OpenCL C
    .language_version:
      - 2
      - 0
    .max_flat_workgroup_size: 256
    .name:           _ZN7rocprim17ROCPRIM_400000_NS6detail30init_device_scan_by_key_kernelINS1_19lookback_scan_stateINS0_5tupleIJibEEELb1ELb1EEENS1_16block_id_wrapperIjLb0EEEEEvT_jjPNS9_10value_typeET0_
    .private_segment_fixed_size: 0
    .sgpr_count:     18
    .sgpr_spill_count: 0
    .symbol:         _ZN7rocprim17ROCPRIM_400000_NS6detail30init_device_scan_by_key_kernelINS1_19lookback_scan_stateINS0_5tupleIJibEEELb1ELb1EEENS1_16block_id_wrapperIjLb0EEEEEvT_jjPNS9_10value_typeET0_.kd
    .uniform_work_group_size: 1
    .uses_dynamic_stack: false
    .vgpr_count:     10
    .vgpr_spill_count: 0
    .wavefront_size: 64
  - .agpr_count:     0
    .args:
      - .offset:         0
        .size:           120
        .value_kind:     by_value
    .group_segment_fixed_size: 0
    .kernarg_segment_align: 8
    .kernarg_segment_size: 120
    .language:       OpenCL C
    .language_version:
      - 2
      - 0
    .max_flat_workgroup_size: 256
    .name:           _ZN7rocprim17ROCPRIM_400000_NS6detail17trampoline_kernelINS0_14default_configENS1_27scan_by_key_config_selectorImiEEZZNS1_16scan_by_key_implILNS1_25lookback_scan_determinismE0ELb0ES3_N6thrust23THRUST_200600_302600_NS18transform_iteratorI9row_indexNS9_17counting_iteratorImNS9_11use_defaultESD_SD_EESD_SD_EENS9_6detail15normal_iteratorINS9_10device_ptrIiEEEESK_iNS9_4plusIvEENS9_8equal_toIvEEiEE10hipError_tPvRmT2_T3_T4_T5_mT6_T7_P12ihipStream_tbENKUlT_T0_E_clISt17integral_constantIbLb1EES14_IbLb0EEEEDaS10_S11_EUlS10_E_NS1_11comp_targetILNS1_3genE0ELNS1_11target_archE4294967295ELNS1_3gpuE0ELNS1_3repE0EEENS1_30default_config_static_selectorELNS0_4arch9wavefront6targetE1EEEvT1_
    .private_segment_fixed_size: 0
    .sgpr_count:     4
    .sgpr_spill_count: 0
    .symbol:         _ZN7rocprim17ROCPRIM_400000_NS6detail17trampoline_kernelINS0_14default_configENS1_27scan_by_key_config_selectorImiEEZZNS1_16scan_by_key_implILNS1_25lookback_scan_determinismE0ELb0ES3_N6thrust23THRUST_200600_302600_NS18transform_iteratorI9row_indexNS9_17counting_iteratorImNS9_11use_defaultESD_SD_EESD_SD_EENS9_6detail15normal_iteratorINS9_10device_ptrIiEEEESK_iNS9_4plusIvEENS9_8equal_toIvEEiEE10hipError_tPvRmT2_T3_T4_T5_mT6_T7_P12ihipStream_tbENKUlT_T0_E_clISt17integral_constantIbLb1EES14_IbLb0EEEEDaS10_S11_EUlS10_E_NS1_11comp_targetILNS1_3genE0ELNS1_11target_archE4294967295ELNS1_3gpuE0ELNS1_3repE0EEENS1_30default_config_static_selectorELNS0_4arch9wavefront6targetE1EEEvT1_.kd
    .uniform_work_group_size: 1
    .uses_dynamic_stack: false
    .vgpr_count:     0
    .vgpr_spill_count: 0
    .wavefront_size: 64
  - .agpr_count:     0
    .args:
      - .offset:         0
        .size:           120
        .value_kind:     by_value
    .group_segment_fixed_size: 0
    .kernarg_segment_align: 8
    .kernarg_segment_size: 120
    .language:       OpenCL C
    .language_version:
      - 2
      - 0
    .max_flat_workgroup_size: 256
    .name:           _ZN7rocprim17ROCPRIM_400000_NS6detail17trampoline_kernelINS0_14default_configENS1_27scan_by_key_config_selectorImiEEZZNS1_16scan_by_key_implILNS1_25lookback_scan_determinismE0ELb0ES3_N6thrust23THRUST_200600_302600_NS18transform_iteratorI9row_indexNS9_17counting_iteratorImNS9_11use_defaultESD_SD_EESD_SD_EENS9_6detail15normal_iteratorINS9_10device_ptrIiEEEESK_iNS9_4plusIvEENS9_8equal_toIvEEiEE10hipError_tPvRmT2_T3_T4_T5_mT6_T7_P12ihipStream_tbENKUlT_T0_E_clISt17integral_constantIbLb1EES14_IbLb0EEEEDaS10_S11_EUlS10_E_NS1_11comp_targetILNS1_3genE10ELNS1_11target_archE1201ELNS1_3gpuE5ELNS1_3repE0EEENS1_30default_config_static_selectorELNS0_4arch9wavefront6targetE1EEEvT1_
    .private_segment_fixed_size: 0
    .sgpr_count:     4
    .sgpr_spill_count: 0
    .symbol:         _ZN7rocprim17ROCPRIM_400000_NS6detail17trampoline_kernelINS0_14default_configENS1_27scan_by_key_config_selectorImiEEZZNS1_16scan_by_key_implILNS1_25lookback_scan_determinismE0ELb0ES3_N6thrust23THRUST_200600_302600_NS18transform_iteratorI9row_indexNS9_17counting_iteratorImNS9_11use_defaultESD_SD_EESD_SD_EENS9_6detail15normal_iteratorINS9_10device_ptrIiEEEESK_iNS9_4plusIvEENS9_8equal_toIvEEiEE10hipError_tPvRmT2_T3_T4_T5_mT6_T7_P12ihipStream_tbENKUlT_T0_E_clISt17integral_constantIbLb1EES14_IbLb0EEEEDaS10_S11_EUlS10_E_NS1_11comp_targetILNS1_3genE10ELNS1_11target_archE1201ELNS1_3gpuE5ELNS1_3repE0EEENS1_30default_config_static_selectorELNS0_4arch9wavefront6targetE1EEEvT1_.kd
    .uniform_work_group_size: 1
    .uses_dynamic_stack: false
    .vgpr_count:     0
    .vgpr_spill_count: 0
    .wavefront_size: 64
  - .agpr_count:     0
    .args:
      - .offset:         0
        .size:           120
        .value_kind:     by_value
    .group_segment_fixed_size: 0
    .kernarg_segment_align: 8
    .kernarg_segment_size: 120
    .language:       OpenCL C
    .language_version:
      - 2
      - 0
    .max_flat_workgroup_size: 256
    .name:           _ZN7rocprim17ROCPRIM_400000_NS6detail17trampoline_kernelINS0_14default_configENS1_27scan_by_key_config_selectorImiEEZZNS1_16scan_by_key_implILNS1_25lookback_scan_determinismE0ELb0ES3_N6thrust23THRUST_200600_302600_NS18transform_iteratorI9row_indexNS9_17counting_iteratorImNS9_11use_defaultESD_SD_EESD_SD_EENS9_6detail15normal_iteratorINS9_10device_ptrIiEEEESK_iNS9_4plusIvEENS9_8equal_toIvEEiEE10hipError_tPvRmT2_T3_T4_T5_mT6_T7_P12ihipStream_tbENKUlT_T0_E_clISt17integral_constantIbLb1EES14_IbLb0EEEEDaS10_S11_EUlS10_E_NS1_11comp_targetILNS1_3genE5ELNS1_11target_archE942ELNS1_3gpuE9ELNS1_3repE0EEENS1_30default_config_static_selectorELNS0_4arch9wavefront6targetE1EEEvT1_
    .private_segment_fixed_size: 0
    .sgpr_count:     4
    .sgpr_spill_count: 0
    .symbol:         _ZN7rocprim17ROCPRIM_400000_NS6detail17trampoline_kernelINS0_14default_configENS1_27scan_by_key_config_selectorImiEEZZNS1_16scan_by_key_implILNS1_25lookback_scan_determinismE0ELb0ES3_N6thrust23THRUST_200600_302600_NS18transform_iteratorI9row_indexNS9_17counting_iteratorImNS9_11use_defaultESD_SD_EESD_SD_EENS9_6detail15normal_iteratorINS9_10device_ptrIiEEEESK_iNS9_4plusIvEENS9_8equal_toIvEEiEE10hipError_tPvRmT2_T3_T4_T5_mT6_T7_P12ihipStream_tbENKUlT_T0_E_clISt17integral_constantIbLb1EES14_IbLb0EEEEDaS10_S11_EUlS10_E_NS1_11comp_targetILNS1_3genE5ELNS1_11target_archE942ELNS1_3gpuE9ELNS1_3repE0EEENS1_30default_config_static_selectorELNS0_4arch9wavefront6targetE1EEEvT1_.kd
    .uniform_work_group_size: 1
    .uses_dynamic_stack: false
    .vgpr_count:     0
    .vgpr_spill_count: 0
    .wavefront_size: 64
  - .agpr_count:     0
    .args:
      - .offset:         0
        .size:           120
        .value_kind:     by_value
    .group_segment_fixed_size: 32768
    .kernarg_segment_align: 8
    .kernarg_segment_size: 120
    .language:       OpenCL C
    .language_version:
      - 2
      - 0
    .max_flat_workgroup_size: 256
    .name:           _ZN7rocprim17ROCPRIM_400000_NS6detail17trampoline_kernelINS0_14default_configENS1_27scan_by_key_config_selectorImiEEZZNS1_16scan_by_key_implILNS1_25lookback_scan_determinismE0ELb0ES3_N6thrust23THRUST_200600_302600_NS18transform_iteratorI9row_indexNS9_17counting_iteratorImNS9_11use_defaultESD_SD_EESD_SD_EENS9_6detail15normal_iteratorINS9_10device_ptrIiEEEESK_iNS9_4plusIvEENS9_8equal_toIvEEiEE10hipError_tPvRmT2_T3_T4_T5_mT6_T7_P12ihipStream_tbENKUlT_T0_E_clISt17integral_constantIbLb1EES14_IbLb0EEEEDaS10_S11_EUlS10_E_NS1_11comp_targetILNS1_3genE4ELNS1_11target_archE910ELNS1_3gpuE8ELNS1_3repE0EEENS1_30default_config_static_selectorELNS0_4arch9wavefront6targetE1EEEvT1_
    .private_segment_fixed_size: 0
    .sgpr_count:     76
    .sgpr_spill_count: 0
    .symbol:         _ZN7rocprim17ROCPRIM_400000_NS6detail17trampoline_kernelINS0_14default_configENS1_27scan_by_key_config_selectorImiEEZZNS1_16scan_by_key_implILNS1_25lookback_scan_determinismE0ELb0ES3_N6thrust23THRUST_200600_302600_NS18transform_iteratorI9row_indexNS9_17counting_iteratorImNS9_11use_defaultESD_SD_EESD_SD_EENS9_6detail15normal_iteratorINS9_10device_ptrIiEEEESK_iNS9_4plusIvEENS9_8equal_toIvEEiEE10hipError_tPvRmT2_T3_T4_T5_mT6_T7_P12ihipStream_tbENKUlT_T0_E_clISt17integral_constantIbLb1EES14_IbLb0EEEEDaS10_S11_EUlS10_E_NS1_11comp_targetILNS1_3genE4ELNS1_11target_archE910ELNS1_3gpuE8ELNS1_3repE0EEENS1_30default_config_static_selectorELNS0_4arch9wavefront6targetE1EEEvT1_.kd
    .uniform_work_group_size: 1
    .uses_dynamic_stack: false
    .vgpr_count:     65
    .vgpr_spill_count: 0
    .wavefront_size: 64
  - .agpr_count:     0
    .args:
      - .offset:         0
        .size:           120
        .value_kind:     by_value
    .group_segment_fixed_size: 0
    .kernarg_segment_align: 8
    .kernarg_segment_size: 120
    .language:       OpenCL C
    .language_version:
      - 2
      - 0
    .max_flat_workgroup_size: 256
    .name:           _ZN7rocprim17ROCPRIM_400000_NS6detail17trampoline_kernelINS0_14default_configENS1_27scan_by_key_config_selectorImiEEZZNS1_16scan_by_key_implILNS1_25lookback_scan_determinismE0ELb0ES3_N6thrust23THRUST_200600_302600_NS18transform_iteratorI9row_indexNS9_17counting_iteratorImNS9_11use_defaultESD_SD_EESD_SD_EENS9_6detail15normal_iteratorINS9_10device_ptrIiEEEESK_iNS9_4plusIvEENS9_8equal_toIvEEiEE10hipError_tPvRmT2_T3_T4_T5_mT6_T7_P12ihipStream_tbENKUlT_T0_E_clISt17integral_constantIbLb1EES14_IbLb0EEEEDaS10_S11_EUlS10_E_NS1_11comp_targetILNS1_3genE3ELNS1_11target_archE908ELNS1_3gpuE7ELNS1_3repE0EEENS1_30default_config_static_selectorELNS0_4arch9wavefront6targetE1EEEvT1_
    .private_segment_fixed_size: 0
    .sgpr_count:     4
    .sgpr_spill_count: 0
    .symbol:         _ZN7rocprim17ROCPRIM_400000_NS6detail17trampoline_kernelINS0_14default_configENS1_27scan_by_key_config_selectorImiEEZZNS1_16scan_by_key_implILNS1_25lookback_scan_determinismE0ELb0ES3_N6thrust23THRUST_200600_302600_NS18transform_iteratorI9row_indexNS9_17counting_iteratorImNS9_11use_defaultESD_SD_EESD_SD_EENS9_6detail15normal_iteratorINS9_10device_ptrIiEEEESK_iNS9_4plusIvEENS9_8equal_toIvEEiEE10hipError_tPvRmT2_T3_T4_T5_mT6_T7_P12ihipStream_tbENKUlT_T0_E_clISt17integral_constantIbLb1EES14_IbLb0EEEEDaS10_S11_EUlS10_E_NS1_11comp_targetILNS1_3genE3ELNS1_11target_archE908ELNS1_3gpuE7ELNS1_3repE0EEENS1_30default_config_static_selectorELNS0_4arch9wavefront6targetE1EEEvT1_.kd
    .uniform_work_group_size: 1
    .uses_dynamic_stack: false
    .vgpr_count:     0
    .vgpr_spill_count: 0
    .wavefront_size: 64
  - .agpr_count:     0
    .args:
      - .offset:         0
        .size:           120
        .value_kind:     by_value
    .group_segment_fixed_size: 0
    .kernarg_segment_align: 8
    .kernarg_segment_size: 120
    .language:       OpenCL C
    .language_version:
      - 2
      - 0
    .max_flat_workgroup_size: 256
    .name:           _ZN7rocprim17ROCPRIM_400000_NS6detail17trampoline_kernelINS0_14default_configENS1_27scan_by_key_config_selectorImiEEZZNS1_16scan_by_key_implILNS1_25lookback_scan_determinismE0ELb0ES3_N6thrust23THRUST_200600_302600_NS18transform_iteratorI9row_indexNS9_17counting_iteratorImNS9_11use_defaultESD_SD_EESD_SD_EENS9_6detail15normal_iteratorINS9_10device_ptrIiEEEESK_iNS9_4plusIvEENS9_8equal_toIvEEiEE10hipError_tPvRmT2_T3_T4_T5_mT6_T7_P12ihipStream_tbENKUlT_T0_E_clISt17integral_constantIbLb1EES14_IbLb0EEEEDaS10_S11_EUlS10_E_NS1_11comp_targetILNS1_3genE2ELNS1_11target_archE906ELNS1_3gpuE6ELNS1_3repE0EEENS1_30default_config_static_selectorELNS0_4arch9wavefront6targetE1EEEvT1_
    .private_segment_fixed_size: 0
    .sgpr_count:     4
    .sgpr_spill_count: 0
    .symbol:         _ZN7rocprim17ROCPRIM_400000_NS6detail17trampoline_kernelINS0_14default_configENS1_27scan_by_key_config_selectorImiEEZZNS1_16scan_by_key_implILNS1_25lookback_scan_determinismE0ELb0ES3_N6thrust23THRUST_200600_302600_NS18transform_iteratorI9row_indexNS9_17counting_iteratorImNS9_11use_defaultESD_SD_EESD_SD_EENS9_6detail15normal_iteratorINS9_10device_ptrIiEEEESK_iNS9_4plusIvEENS9_8equal_toIvEEiEE10hipError_tPvRmT2_T3_T4_T5_mT6_T7_P12ihipStream_tbENKUlT_T0_E_clISt17integral_constantIbLb1EES14_IbLb0EEEEDaS10_S11_EUlS10_E_NS1_11comp_targetILNS1_3genE2ELNS1_11target_archE906ELNS1_3gpuE6ELNS1_3repE0EEENS1_30default_config_static_selectorELNS0_4arch9wavefront6targetE1EEEvT1_.kd
    .uniform_work_group_size: 1
    .uses_dynamic_stack: false
    .vgpr_count:     0
    .vgpr_spill_count: 0
    .wavefront_size: 64
  - .agpr_count:     0
    .args:
      - .offset:         0
        .size:           120
        .value_kind:     by_value
    .group_segment_fixed_size: 0
    .kernarg_segment_align: 8
    .kernarg_segment_size: 120
    .language:       OpenCL C
    .language_version:
      - 2
      - 0
    .max_flat_workgroup_size: 256
    .name:           _ZN7rocprim17ROCPRIM_400000_NS6detail17trampoline_kernelINS0_14default_configENS1_27scan_by_key_config_selectorImiEEZZNS1_16scan_by_key_implILNS1_25lookback_scan_determinismE0ELb0ES3_N6thrust23THRUST_200600_302600_NS18transform_iteratorI9row_indexNS9_17counting_iteratorImNS9_11use_defaultESD_SD_EESD_SD_EENS9_6detail15normal_iteratorINS9_10device_ptrIiEEEESK_iNS9_4plusIvEENS9_8equal_toIvEEiEE10hipError_tPvRmT2_T3_T4_T5_mT6_T7_P12ihipStream_tbENKUlT_T0_E_clISt17integral_constantIbLb1EES14_IbLb0EEEEDaS10_S11_EUlS10_E_NS1_11comp_targetILNS1_3genE10ELNS1_11target_archE1200ELNS1_3gpuE4ELNS1_3repE0EEENS1_30default_config_static_selectorELNS0_4arch9wavefront6targetE1EEEvT1_
    .private_segment_fixed_size: 0
    .sgpr_count:     4
    .sgpr_spill_count: 0
    .symbol:         _ZN7rocprim17ROCPRIM_400000_NS6detail17trampoline_kernelINS0_14default_configENS1_27scan_by_key_config_selectorImiEEZZNS1_16scan_by_key_implILNS1_25lookback_scan_determinismE0ELb0ES3_N6thrust23THRUST_200600_302600_NS18transform_iteratorI9row_indexNS9_17counting_iteratorImNS9_11use_defaultESD_SD_EESD_SD_EENS9_6detail15normal_iteratorINS9_10device_ptrIiEEEESK_iNS9_4plusIvEENS9_8equal_toIvEEiEE10hipError_tPvRmT2_T3_T4_T5_mT6_T7_P12ihipStream_tbENKUlT_T0_E_clISt17integral_constantIbLb1EES14_IbLb0EEEEDaS10_S11_EUlS10_E_NS1_11comp_targetILNS1_3genE10ELNS1_11target_archE1200ELNS1_3gpuE4ELNS1_3repE0EEENS1_30default_config_static_selectorELNS0_4arch9wavefront6targetE1EEEvT1_.kd
    .uniform_work_group_size: 1
    .uses_dynamic_stack: false
    .vgpr_count:     0
    .vgpr_spill_count: 0
    .wavefront_size: 64
  - .agpr_count:     0
    .args:
      - .offset:         0
        .size:           120
        .value_kind:     by_value
    .group_segment_fixed_size: 0
    .kernarg_segment_align: 8
    .kernarg_segment_size: 120
    .language:       OpenCL C
    .language_version:
      - 2
      - 0
    .max_flat_workgroup_size: 256
    .name:           _ZN7rocprim17ROCPRIM_400000_NS6detail17trampoline_kernelINS0_14default_configENS1_27scan_by_key_config_selectorImiEEZZNS1_16scan_by_key_implILNS1_25lookback_scan_determinismE0ELb0ES3_N6thrust23THRUST_200600_302600_NS18transform_iteratorI9row_indexNS9_17counting_iteratorImNS9_11use_defaultESD_SD_EESD_SD_EENS9_6detail15normal_iteratorINS9_10device_ptrIiEEEESK_iNS9_4plusIvEENS9_8equal_toIvEEiEE10hipError_tPvRmT2_T3_T4_T5_mT6_T7_P12ihipStream_tbENKUlT_T0_E_clISt17integral_constantIbLb1EES14_IbLb0EEEEDaS10_S11_EUlS10_E_NS1_11comp_targetILNS1_3genE9ELNS1_11target_archE1100ELNS1_3gpuE3ELNS1_3repE0EEENS1_30default_config_static_selectorELNS0_4arch9wavefront6targetE1EEEvT1_
    .private_segment_fixed_size: 0
    .sgpr_count:     4
    .sgpr_spill_count: 0
    .symbol:         _ZN7rocprim17ROCPRIM_400000_NS6detail17trampoline_kernelINS0_14default_configENS1_27scan_by_key_config_selectorImiEEZZNS1_16scan_by_key_implILNS1_25lookback_scan_determinismE0ELb0ES3_N6thrust23THRUST_200600_302600_NS18transform_iteratorI9row_indexNS9_17counting_iteratorImNS9_11use_defaultESD_SD_EESD_SD_EENS9_6detail15normal_iteratorINS9_10device_ptrIiEEEESK_iNS9_4plusIvEENS9_8equal_toIvEEiEE10hipError_tPvRmT2_T3_T4_T5_mT6_T7_P12ihipStream_tbENKUlT_T0_E_clISt17integral_constantIbLb1EES14_IbLb0EEEEDaS10_S11_EUlS10_E_NS1_11comp_targetILNS1_3genE9ELNS1_11target_archE1100ELNS1_3gpuE3ELNS1_3repE0EEENS1_30default_config_static_selectorELNS0_4arch9wavefront6targetE1EEEvT1_.kd
    .uniform_work_group_size: 1
    .uses_dynamic_stack: false
    .vgpr_count:     0
    .vgpr_spill_count: 0
    .wavefront_size: 64
  - .agpr_count:     0
    .args:
      - .offset:         0
        .size:           120
        .value_kind:     by_value
    .group_segment_fixed_size: 0
    .kernarg_segment_align: 8
    .kernarg_segment_size: 120
    .language:       OpenCL C
    .language_version:
      - 2
      - 0
    .max_flat_workgroup_size: 256
    .name:           _ZN7rocprim17ROCPRIM_400000_NS6detail17trampoline_kernelINS0_14default_configENS1_27scan_by_key_config_selectorImiEEZZNS1_16scan_by_key_implILNS1_25lookback_scan_determinismE0ELb0ES3_N6thrust23THRUST_200600_302600_NS18transform_iteratorI9row_indexNS9_17counting_iteratorImNS9_11use_defaultESD_SD_EESD_SD_EENS9_6detail15normal_iteratorINS9_10device_ptrIiEEEESK_iNS9_4plusIvEENS9_8equal_toIvEEiEE10hipError_tPvRmT2_T3_T4_T5_mT6_T7_P12ihipStream_tbENKUlT_T0_E_clISt17integral_constantIbLb1EES14_IbLb0EEEEDaS10_S11_EUlS10_E_NS1_11comp_targetILNS1_3genE8ELNS1_11target_archE1030ELNS1_3gpuE2ELNS1_3repE0EEENS1_30default_config_static_selectorELNS0_4arch9wavefront6targetE1EEEvT1_
    .private_segment_fixed_size: 0
    .sgpr_count:     4
    .sgpr_spill_count: 0
    .symbol:         _ZN7rocprim17ROCPRIM_400000_NS6detail17trampoline_kernelINS0_14default_configENS1_27scan_by_key_config_selectorImiEEZZNS1_16scan_by_key_implILNS1_25lookback_scan_determinismE0ELb0ES3_N6thrust23THRUST_200600_302600_NS18transform_iteratorI9row_indexNS9_17counting_iteratorImNS9_11use_defaultESD_SD_EESD_SD_EENS9_6detail15normal_iteratorINS9_10device_ptrIiEEEESK_iNS9_4plusIvEENS9_8equal_toIvEEiEE10hipError_tPvRmT2_T3_T4_T5_mT6_T7_P12ihipStream_tbENKUlT_T0_E_clISt17integral_constantIbLb1EES14_IbLb0EEEEDaS10_S11_EUlS10_E_NS1_11comp_targetILNS1_3genE8ELNS1_11target_archE1030ELNS1_3gpuE2ELNS1_3repE0EEENS1_30default_config_static_selectorELNS0_4arch9wavefront6targetE1EEEvT1_.kd
    .uniform_work_group_size: 1
    .uses_dynamic_stack: false
    .vgpr_count:     0
    .vgpr_spill_count: 0
    .wavefront_size: 64
  - .agpr_count:     0
    .args:
      - .address_space:  global
        .offset:         0
        .size:           8
        .value_kind:     global_buffer
      - .offset:         8
        .size:           4
        .value_kind:     by_value
      - .offset:         12
        .size:           4
        .value_kind:     by_value
      - .address_space:  global
        .offset:         16
        .size:           8
        .value_kind:     global_buffer
      - .offset:         24
        .size:           16
        .value_kind:     by_value
      - .actual_access:  write_only
        .address_space:  global
        .offset:         40
        .size:           8
        .value_kind:     global_buffer
      - .offset:         48
        .size:           8
        .value_kind:     by_value
      - .offset:         56
        .size:           4
        .value_kind:     by_value
      - .address_space:  global
        .offset:         64
        .size:           8
        .value_kind:     global_buffer
      - .offset:         72
        .size:           4
        .value_kind:     hidden_block_count_x
      - .offset:         76
        .size:           4
        .value_kind:     hidden_block_count_y
      - .offset:         80
        .size:           4
        .value_kind:     hidden_block_count_z
      - .offset:         84
        .size:           2
        .value_kind:     hidden_group_size_x
      - .offset:         86
        .size:           2
        .value_kind:     hidden_group_size_y
      - .offset:         88
        .size:           2
        .value_kind:     hidden_group_size_z
      - .offset:         90
        .size:           2
        .value_kind:     hidden_remainder_x
      - .offset:         92
        .size:           2
        .value_kind:     hidden_remainder_y
      - .offset:         94
        .size:           2
        .value_kind:     hidden_remainder_z
      - .offset:         112
        .size:           8
        .value_kind:     hidden_global_offset_x
      - .offset:         120
        .size:           8
        .value_kind:     hidden_global_offset_y
      - .offset:         128
        .size:           8
        .value_kind:     hidden_global_offset_z
      - .offset:         136
        .size:           2
        .value_kind:     hidden_grid_dims
    .group_segment_fixed_size: 0
    .kernarg_segment_align: 8
    .kernarg_segment_size: 328
    .language:       OpenCL C
    .language_version:
      - 2
      - 0
    .max_flat_workgroup_size: 256
    .name:           _ZN7rocprim17ROCPRIM_400000_NS6detail30init_device_scan_by_key_kernelINS1_19lookback_scan_stateINS0_5tupleIJibEEELb0ELb1EEEN6thrust23THRUST_200600_302600_NS18transform_iteratorI9row_indexNS8_17counting_iteratorImNS8_11use_defaultESC_SC_EESC_SC_EEjNS1_16block_id_wrapperIjLb1EEEEEvT_jjPNSH_10value_typeET0_PNSt15iterator_traitsISK_E10value_typeEmT1_T2_
    .private_segment_fixed_size: 0
    .sgpr_count:     24
    .sgpr_spill_count: 0
    .symbol:         _ZN7rocprim17ROCPRIM_400000_NS6detail30init_device_scan_by_key_kernelINS1_19lookback_scan_stateINS0_5tupleIJibEEELb0ELb1EEEN6thrust23THRUST_200600_302600_NS18transform_iteratorI9row_indexNS8_17counting_iteratorImNS8_11use_defaultESC_SC_EESC_SC_EEjNS1_16block_id_wrapperIjLb1EEEEEvT_jjPNSH_10value_typeET0_PNSt15iterator_traitsISK_E10value_typeEmT1_T2_.kd
    .uniform_work_group_size: 1
    .uses_dynamic_stack: false
    .vgpr_count:     19
    .vgpr_spill_count: 0
    .wavefront_size: 64
  - .agpr_count:     0
    .args:
      - .address_space:  global
        .offset:         0
        .size:           8
        .value_kind:     global_buffer
      - .offset:         8
        .size:           4
        .value_kind:     by_value
      - .offset:         12
        .size:           4
        .value_kind:     by_value
      - .address_space:  global
        .offset:         16
        .size:           8
        .value_kind:     global_buffer
      - .address_space:  global
        .offset:         24
        .size:           8
        .value_kind:     global_buffer
      - .offset:         32
        .size:           4
        .value_kind:     hidden_block_count_x
      - .offset:         36
        .size:           4
        .value_kind:     hidden_block_count_y
      - .offset:         40
        .size:           4
        .value_kind:     hidden_block_count_z
      - .offset:         44
        .size:           2
        .value_kind:     hidden_group_size_x
      - .offset:         46
        .size:           2
        .value_kind:     hidden_group_size_y
      - .offset:         48
        .size:           2
        .value_kind:     hidden_group_size_z
      - .offset:         50
        .size:           2
        .value_kind:     hidden_remainder_x
      - .offset:         52
        .size:           2
        .value_kind:     hidden_remainder_y
      - .offset:         54
        .size:           2
        .value_kind:     hidden_remainder_z
      - .offset:         72
        .size:           8
        .value_kind:     hidden_global_offset_x
      - .offset:         80
        .size:           8
        .value_kind:     hidden_global_offset_y
      - .offset:         88
        .size:           8
        .value_kind:     hidden_global_offset_z
      - .offset:         96
        .size:           2
        .value_kind:     hidden_grid_dims
    .group_segment_fixed_size: 0
    .kernarg_segment_align: 8
    .kernarg_segment_size: 288
    .language:       OpenCL C
    .language_version:
      - 2
      - 0
    .max_flat_workgroup_size: 256
    .name:           _ZN7rocprim17ROCPRIM_400000_NS6detail30init_device_scan_by_key_kernelINS1_19lookback_scan_stateINS0_5tupleIJibEEELb0ELb1EEENS1_16block_id_wrapperIjLb1EEEEEvT_jjPNS9_10value_typeET0_
    .private_segment_fixed_size: 0
    .sgpr_count:     20
    .sgpr_spill_count: 0
    .symbol:         _ZN7rocprim17ROCPRIM_400000_NS6detail30init_device_scan_by_key_kernelINS1_19lookback_scan_stateINS0_5tupleIJibEEELb0ELb1EEENS1_16block_id_wrapperIjLb1EEEEEvT_jjPNS9_10value_typeET0_.kd
    .uniform_work_group_size: 1
    .uses_dynamic_stack: false
    .vgpr_count:     10
    .vgpr_spill_count: 0
    .wavefront_size: 64
  - .agpr_count:     0
    .args:
      - .offset:         0
        .size:           120
        .value_kind:     by_value
    .group_segment_fixed_size: 0
    .kernarg_segment_align: 8
    .kernarg_segment_size: 120
    .language:       OpenCL C
    .language_version:
      - 2
      - 0
    .max_flat_workgroup_size: 256
    .name:           _ZN7rocprim17ROCPRIM_400000_NS6detail17trampoline_kernelINS0_14default_configENS1_27scan_by_key_config_selectorImiEEZZNS1_16scan_by_key_implILNS1_25lookback_scan_determinismE0ELb0ES3_N6thrust23THRUST_200600_302600_NS18transform_iteratorI9row_indexNS9_17counting_iteratorImNS9_11use_defaultESD_SD_EESD_SD_EENS9_6detail15normal_iteratorINS9_10device_ptrIiEEEESK_iNS9_4plusIvEENS9_8equal_toIvEEiEE10hipError_tPvRmT2_T3_T4_T5_mT6_T7_P12ihipStream_tbENKUlT_T0_E_clISt17integral_constantIbLb0EES14_IbLb1EEEEDaS10_S11_EUlS10_E_NS1_11comp_targetILNS1_3genE0ELNS1_11target_archE4294967295ELNS1_3gpuE0ELNS1_3repE0EEENS1_30default_config_static_selectorELNS0_4arch9wavefront6targetE1EEEvT1_
    .private_segment_fixed_size: 0
    .sgpr_count:     4
    .sgpr_spill_count: 0
    .symbol:         _ZN7rocprim17ROCPRIM_400000_NS6detail17trampoline_kernelINS0_14default_configENS1_27scan_by_key_config_selectorImiEEZZNS1_16scan_by_key_implILNS1_25lookback_scan_determinismE0ELb0ES3_N6thrust23THRUST_200600_302600_NS18transform_iteratorI9row_indexNS9_17counting_iteratorImNS9_11use_defaultESD_SD_EESD_SD_EENS9_6detail15normal_iteratorINS9_10device_ptrIiEEEESK_iNS9_4plusIvEENS9_8equal_toIvEEiEE10hipError_tPvRmT2_T3_T4_T5_mT6_T7_P12ihipStream_tbENKUlT_T0_E_clISt17integral_constantIbLb0EES14_IbLb1EEEEDaS10_S11_EUlS10_E_NS1_11comp_targetILNS1_3genE0ELNS1_11target_archE4294967295ELNS1_3gpuE0ELNS1_3repE0EEENS1_30default_config_static_selectorELNS0_4arch9wavefront6targetE1EEEvT1_.kd
    .uniform_work_group_size: 1
    .uses_dynamic_stack: false
    .vgpr_count:     0
    .vgpr_spill_count: 0
    .wavefront_size: 64
  - .agpr_count:     0
    .args:
      - .offset:         0
        .size:           120
        .value_kind:     by_value
    .group_segment_fixed_size: 0
    .kernarg_segment_align: 8
    .kernarg_segment_size: 120
    .language:       OpenCL C
    .language_version:
      - 2
      - 0
    .max_flat_workgroup_size: 256
    .name:           _ZN7rocprim17ROCPRIM_400000_NS6detail17trampoline_kernelINS0_14default_configENS1_27scan_by_key_config_selectorImiEEZZNS1_16scan_by_key_implILNS1_25lookback_scan_determinismE0ELb0ES3_N6thrust23THRUST_200600_302600_NS18transform_iteratorI9row_indexNS9_17counting_iteratorImNS9_11use_defaultESD_SD_EESD_SD_EENS9_6detail15normal_iteratorINS9_10device_ptrIiEEEESK_iNS9_4plusIvEENS9_8equal_toIvEEiEE10hipError_tPvRmT2_T3_T4_T5_mT6_T7_P12ihipStream_tbENKUlT_T0_E_clISt17integral_constantIbLb0EES14_IbLb1EEEEDaS10_S11_EUlS10_E_NS1_11comp_targetILNS1_3genE10ELNS1_11target_archE1201ELNS1_3gpuE5ELNS1_3repE0EEENS1_30default_config_static_selectorELNS0_4arch9wavefront6targetE1EEEvT1_
    .private_segment_fixed_size: 0
    .sgpr_count:     4
    .sgpr_spill_count: 0
    .symbol:         _ZN7rocprim17ROCPRIM_400000_NS6detail17trampoline_kernelINS0_14default_configENS1_27scan_by_key_config_selectorImiEEZZNS1_16scan_by_key_implILNS1_25lookback_scan_determinismE0ELb0ES3_N6thrust23THRUST_200600_302600_NS18transform_iteratorI9row_indexNS9_17counting_iteratorImNS9_11use_defaultESD_SD_EESD_SD_EENS9_6detail15normal_iteratorINS9_10device_ptrIiEEEESK_iNS9_4plusIvEENS9_8equal_toIvEEiEE10hipError_tPvRmT2_T3_T4_T5_mT6_T7_P12ihipStream_tbENKUlT_T0_E_clISt17integral_constantIbLb0EES14_IbLb1EEEEDaS10_S11_EUlS10_E_NS1_11comp_targetILNS1_3genE10ELNS1_11target_archE1201ELNS1_3gpuE5ELNS1_3repE0EEENS1_30default_config_static_selectorELNS0_4arch9wavefront6targetE1EEEvT1_.kd
    .uniform_work_group_size: 1
    .uses_dynamic_stack: false
    .vgpr_count:     0
    .vgpr_spill_count: 0
    .wavefront_size: 64
  - .agpr_count:     0
    .args:
      - .offset:         0
        .size:           120
        .value_kind:     by_value
    .group_segment_fixed_size: 0
    .kernarg_segment_align: 8
    .kernarg_segment_size: 120
    .language:       OpenCL C
    .language_version:
      - 2
      - 0
    .max_flat_workgroup_size: 256
    .name:           _ZN7rocprim17ROCPRIM_400000_NS6detail17trampoline_kernelINS0_14default_configENS1_27scan_by_key_config_selectorImiEEZZNS1_16scan_by_key_implILNS1_25lookback_scan_determinismE0ELb0ES3_N6thrust23THRUST_200600_302600_NS18transform_iteratorI9row_indexNS9_17counting_iteratorImNS9_11use_defaultESD_SD_EESD_SD_EENS9_6detail15normal_iteratorINS9_10device_ptrIiEEEESK_iNS9_4plusIvEENS9_8equal_toIvEEiEE10hipError_tPvRmT2_T3_T4_T5_mT6_T7_P12ihipStream_tbENKUlT_T0_E_clISt17integral_constantIbLb0EES14_IbLb1EEEEDaS10_S11_EUlS10_E_NS1_11comp_targetILNS1_3genE5ELNS1_11target_archE942ELNS1_3gpuE9ELNS1_3repE0EEENS1_30default_config_static_selectorELNS0_4arch9wavefront6targetE1EEEvT1_
    .private_segment_fixed_size: 0
    .sgpr_count:     4
    .sgpr_spill_count: 0
    .symbol:         _ZN7rocprim17ROCPRIM_400000_NS6detail17trampoline_kernelINS0_14default_configENS1_27scan_by_key_config_selectorImiEEZZNS1_16scan_by_key_implILNS1_25lookback_scan_determinismE0ELb0ES3_N6thrust23THRUST_200600_302600_NS18transform_iteratorI9row_indexNS9_17counting_iteratorImNS9_11use_defaultESD_SD_EESD_SD_EENS9_6detail15normal_iteratorINS9_10device_ptrIiEEEESK_iNS9_4plusIvEENS9_8equal_toIvEEiEE10hipError_tPvRmT2_T3_T4_T5_mT6_T7_P12ihipStream_tbENKUlT_T0_E_clISt17integral_constantIbLb0EES14_IbLb1EEEEDaS10_S11_EUlS10_E_NS1_11comp_targetILNS1_3genE5ELNS1_11target_archE942ELNS1_3gpuE9ELNS1_3repE0EEENS1_30default_config_static_selectorELNS0_4arch9wavefront6targetE1EEEvT1_.kd
    .uniform_work_group_size: 1
    .uses_dynamic_stack: false
    .vgpr_count:     0
    .vgpr_spill_count: 0
    .wavefront_size: 64
  - .agpr_count:     0
    .args:
      - .offset:         0
        .size:           120
        .value_kind:     by_value
    .group_segment_fixed_size: 32768
    .kernarg_segment_align: 8
    .kernarg_segment_size: 120
    .language:       OpenCL C
    .language_version:
      - 2
      - 0
    .max_flat_workgroup_size: 256
    .name:           _ZN7rocprim17ROCPRIM_400000_NS6detail17trampoline_kernelINS0_14default_configENS1_27scan_by_key_config_selectorImiEEZZNS1_16scan_by_key_implILNS1_25lookback_scan_determinismE0ELb0ES3_N6thrust23THRUST_200600_302600_NS18transform_iteratorI9row_indexNS9_17counting_iteratorImNS9_11use_defaultESD_SD_EESD_SD_EENS9_6detail15normal_iteratorINS9_10device_ptrIiEEEESK_iNS9_4plusIvEENS9_8equal_toIvEEiEE10hipError_tPvRmT2_T3_T4_T5_mT6_T7_P12ihipStream_tbENKUlT_T0_E_clISt17integral_constantIbLb0EES14_IbLb1EEEEDaS10_S11_EUlS10_E_NS1_11comp_targetILNS1_3genE4ELNS1_11target_archE910ELNS1_3gpuE8ELNS1_3repE0EEENS1_30default_config_static_selectorELNS0_4arch9wavefront6targetE1EEEvT1_
    .private_segment_fixed_size: 0
    .sgpr_count:     80
    .sgpr_spill_count: 0
    .symbol:         _ZN7rocprim17ROCPRIM_400000_NS6detail17trampoline_kernelINS0_14default_configENS1_27scan_by_key_config_selectorImiEEZZNS1_16scan_by_key_implILNS1_25lookback_scan_determinismE0ELb0ES3_N6thrust23THRUST_200600_302600_NS18transform_iteratorI9row_indexNS9_17counting_iteratorImNS9_11use_defaultESD_SD_EESD_SD_EENS9_6detail15normal_iteratorINS9_10device_ptrIiEEEESK_iNS9_4plusIvEENS9_8equal_toIvEEiEE10hipError_tPvRmT2_T3_T4_T5_mT6_T7_P12ihipStream_tbENKUlT_T0_E_clISt17integral_constantIbLb0EES14_IbLb1EEEEDaS10_S11_EUlS10_E_NS1_11comp_targetILNS1_3genE4ELNS1_11target_archE910ELNS1_3gpuE8ELNS1_3repE0EEENS1_30default_config_static_selectorELNS0_4arch9wavefront6targetE1EEEvT1_.kd
    .uniform_work_group_size: 1
    .uses_dynamic_stack: false
    .vgpr_count:     65
    .vgpr_spill_count: 0
    .wavefront_size: 64
  - .agpr_count:     0
    .args:
      - .offset:         0
        .size:           120
        .value_kind:     by_value
    .group_segment_fixed_size: 0
    .kernarg_segment_align: 8
    .kernarg_segment_size: 120
    .language:       OpenCL C
    .language_version:
      - 2
      - 0
    .max_flat_workgroup_size: 256
    .name:           _ZN7rocprim17ROCPRIM_400000_NS6detail17trampoline_kernelINS0_14default_configENS1_27scan_by_key_config_selectorImiEEZZNS1_16scan_by_key_implILNS1_25lookback_scan_determinismE0ELb0ES3_N6thrust23THRUST_200600_302600_NS18transform_iteratorI9row_indexNS9_17counting_iteratorImNS9_11use_defaultESD_SD_EESD_SD_EENS9_6detail15normal_iteratorINS9_10device_ptrIiEEEESK_iNS9_4plusIvEENS9_8equal_toIvEEiEE10hipError_tPvRmT2_T3_T4_T5_mT6_T7_P12ihipStream_tbENKUlT_T0_E_clISt17integral_constantIbLb0EES14_IbLb1EEEEDaS10_S11_EUlS10_E_NS1_11comp_targetILNS1_3genE3ELNS1_11target_archE908ELNS1_3gpuE7ELNS1_3repE0EEENS1_30default_config_static_selectorELNS0_4arch9wavefront6targetE1EEEvT1_
    .private_segment_fixed_size: 0
    .sgpr_count:     4
    .sgpr_spill_count: 0
    .symbol:         _ZN7rocprim17ROCPRIM_400000_NS6detail17trampoline_kernelINS0_14default_configENS1_27scan_by_key_config_selectorImiEEZZNS1_16scan_by_key_implILNS1_25lookback_scan_determinismE0ELb0ES3_N6thrust23THRUST_200600_302600_NS18transform_iteratorI9row_indexNS9_17counting_iteratorImNS9_11use_defaultESD_SD_EESD_SD_EENS9_6detail15normal_iteratorINS9_10device_ptrIiEEEESK_iNS9_4plusIvEENS9_8equal_toIvEEiEE10hipError_tPvRmT2_T3_T4_T5_mT6_T7_P12ihipStream_tbENKUlT_T0_E_clISt17integral_constantIbLb0EES14_IbLb1EEEEDaS10_S11_EUlS10_E_NS1_11comp_targetILNS1_3genE3ELNS1_11target_archE908ELNS1_3gpuE7ELNS1_3repE0EEENS1_30default_config_static_selectorELNS0_4arch9wavefront6targetE1EEEvT1_.kd
    .uniform_work_group_size: 1
    .uses_dynamic_stack: false
    .vgpr_count:     0
    .vgpr_spill_count: 0
    .wavefront_size: 64
  - .agpr_count:     0
    .args:
      - .offset:         0
        .size:           120
        .value_kind:     by_value
    .group_segment_fixed_size: 0
    .kernarg_segment_align: 8
    .kernarg_segment_size: 120
    .language:       OpenCL C
    .language_version:
      - 2
      - 0
    .max_flat_workgroup_size: 256
    .name:           _ZN7rocprim17ROCPRIM_400000_NS6detail17trampoline_kernelINS0_14default_configENS1_27scan_by_key_config_selectorImiEEZZNS1_16scan_by_key_implILNS1_25lookback_scan_determinismE0ELb0ES3_N6thrust23THRUST_200600_302600_NS18transform_iteratorI9row_indexNS9_17counting_iteratorImNS9_11use_defaultESD_SD_EESD_SD_EENS9_6detail15normal_iteratorINS9_10device_ptrIiEEEESK_iNS9_4plusIvEENS9_8equal_toIvEEiEE10hipError_tPvRmT2_T3_T4_T5_mT6_T7_P12ihipStream_tbENKUlT_T0_E_clISt17integral_constantIbLb0EES14_IbLb1EEEEDaS10_S11_EUlS10_E_NS1_11comp_targetILNS1_3genE2ELNS1_11target_archE906ELNS1_3gpuE6ELNS1_3repE0EEENS1_30default_config_static_selectorELNS0_4arch9wavefront6targetE1EEEvT1_
    .private_segment_fixed_size: 0
    .sgpr_count:     4
    .sgpr_spill_count: 0
    .symbol:         _ZN7rocprim17ROCPRIM_400000_NS6detail17trampoline_kernelINS0_14default_configENS1_27scan_by_key_config_selectorImiEEZZNS1_16scan_by_key_implILNS1_25lookback_scan_determinismE0ELb0ES3_N6thrust23THRUST_200600_302600_NS18transform_iteratorI9row_indexNS9_17counting_iteratorImNS9_11use_defaultESD_SD_EESD_SD_EENS9_6detail15normal_iteratorINS9_10device_ptrIiEEEESK_iNS9_4plusIvEENS9_8equal_toIvEEiEE10hipError_tPvRmT2_T3_T4_T5_mT6_T7_P12ihipStream_tbENKUlT_T0_E_clISt17integral_constantIbLb0EES14_IbLb1EEEEDaS10_S11_EUlS10_E_NS1_11comp_targetILNS1_3genE2ELNS1_11target_archE906ELNS1_3gpuE6ELNS1_3repE0EEENS1_30default_config_static_selectorELNS0_4arch9wavefront6targetE1EEEvT1_.kd
    .uniform_work_group_size: 1
    .uses_dynamic_stack: false
    .vgpr_count:     0
    .vgpr_spill_count: 0
    .wavefront_size: 64
  - .agpr_count:     0
    .args:
      - .offset:         0
        .size:           120
        .value_kind:     by_value
    .group_segment_fixed_size: 0
    .kernarg_segment_align: 8
    .kernarg_segment_size: 120
    .language:       OpenCL C
    .language_version:
      - 2
      - 0
    .max_flat_workgroup_size: 256
    .name:           _ZN7rocprim17ROCPRIM_400000_NS6detail17trampoline_kernelINS0_14default_configENS1_27scan_by_key_config_selectorImiEEZZNS1_16scan_by_key_implILNS1_25lookback_scan_determinismE0ELb0ES3_N6thrust23THRUST_200600_302600_NS18transform_iteratorI9row_indexNS9_17counting_iteratorImNS9_11use_defaultESD_SD_EESD_SD_EENS9_6detail15normal_iteratorINS9_10device_ptrIiEEEESK_iNS9_4plusIvEENS9_8equal_toIvEEiEE10hipError_tPvRmT2_T3_T4_T5_mT6_T7_P12ihipStream_tbENKUlT_T0_E_clISt17integral_constantIbLb0EES14_IbLb1EEEEDaS10_S11_EUlS10_E_NS1_11comp_targetILNS1_3genE10ELNS1_11target_archE1200ELNS1_3gpuE4ELNS1_3repE0EEENS1_30default_config_static_selectorELNS0_4arch9wavefront6targetE1EEEvT1_
    .private_segment_fixed_size: 0
    .sgpr_count:     4
    .sgpr_spill_count: 0
    .symbol:         _ZN7rocprim17ROCPRIM_400000_NS6detail17trampoline_kernelINS0_14default_configENS1_27scan_by_key_config_selectorImiEEZZNS1_16scan_by_key_implILNS1_25lookback_scan_determinismE0ELb0ES3_N6thrust23THRUST_200600_302600_NS18transform_iteratorI9row_indexNS9_17counting_iteratorImNS9_11use_defaultESD_SD_EESD_SD_EENS9_6detail15normal_iteratorINS9_10device_ptrIiEEEESK_iNS9_4plusIvEENS9_8equal_toIvEEiEE10hipError_tPvRmT2_T3_T4_T5_mT6_T7_P12ihipStream_tbENKUlT_T0_E_clISt17integral_constantIbLb0EES14_IbLb1EEEEDaS10_S11_EUlS10_E_NS1_11comp_targetILNS1_3genE10ELNS1_11target_archE1200ELNS1_3gpuE4ELNS1_3repE0EEENS1_30default_config_static_selectorELNS0_4arch9wavefront6targetE1EEEvT1_.kd
    .uniform_work_group_size: 1
    .uses_dynamic_stack: false
    .vgpr_count:     0
    .vgpr_spill_count: 0
    .wavefront_size: 64
  - .agpr_count:     0
    .args:
      - .offset:         0
        .size:           120
        .value_kind:     by_value
    .group_segment_fixed_size: 0
    .kernarg_segment_align: 8
    .kernarg_segment_size: 120
    .language:       OpenCL C
    .language_version:
      - 2
      - 0
    .max_flat_workgroup_size: 256
    .name:           _ZN7rocprim17ROCPRIM_400000_NS6detail17trampoline_kernelINS0_14default_configENS1_27scan_by_key_config_selectorImiEEZZNS1_16scan_by_key_implILNS1_25lookback_scan_determinismE0ELb0ES3_N6thrust23THRUST_200600_302600_NS18transform_iteratorI9row_indexNS9_17counting_iteratorImNS9_11use_defaultESD_SD_EESD_SD_EENS9_6detail15normal_iteratorINS9_10device_ptrIiEEEESK_iNS9_4plusIvEENS9_8equal_toIvEEiEE10hipError_tPvRmT2_T3_T4_T5_mT6_T7_P12ihipStream_tbENKUlT_T0_E_clISt17integral_constantIbLb0EES14_IbLb1EEEEDaS10_S11_EUlS10_E_NS1_11comp_targetILNS1_3genE9ELNS1_11target_archE1100ELNS1_3gpuE3ELNS1_3repE0EEENS1_30default_config_static_selectorELNS0_4arch9wavefront6targetE1EEEvT1_
    .private_segment_fixed_size: 0
    .sgpr_count:     4
    .sgpr_spill_count: 0
    .symbol:         _ZN7rocprim17ROCPRIM_400000_NS6detail17trampoline_kernelINS0_14default_configENS1_27scan_by_key_config_selectorImiEEZZNS1_16scan_by_key_implILNS1_25lookback_scan_determinismE0ELb0ES3_N6thrust23THRUST_200600_302600_NS18transform_iteratorI9row_indexNS9_17counting_iteratorImNS9_11use_defaultESD_SD_EESD_SD_EENS9_6detail15normal_iteratorINS9_10device_ptrIiEEEESK_iNS9_4plusIvEENS9_8equal_toIvEEiEE10hipError_tPvRmT2_T3_T4_T5_mT6_T7_P12ihipStream_tbENKUlT_T0_E_clISt17integral_constantIbLb0EES14_IbLb1EEEEDaS10_S11_EUlS10_E_NS1_11comp_targetILNS1_3genE9ELNS1_11target_archE1100ELNS1_3gpuE3ELNS1_3repE0EEENS1_30default_config_static_selectorELNS0_4arch9wavefront6targetE1EEEvT1_.kd
    .uniform_work_group_size: 1
    .uses_dynamic_stack: false
    .vgpr_count:     0
    .vgpr_spill_count: 0
    .wavefront_size: 64
  - .agpr_count:     0
    .args:
      - .offset:         0
        .size:           120
        .value_kind:     by_value
    .group_segment_fixed_size: 0
    .kernarg_segment_align: 8
    .kernarg_segment_size: 120
    .language:       OpenCL C
    .language_version:
      - 2
      - 0
    .max_flat_workgroup_size: 256
    .name:           _ZN7rocprim17ROCPRIM_400000_NS6detail17trampoline_kernelINS0_14default_configENS1_27scan_by_key_config_selectorImiEEZZNS1_16scan_by_key_implILNS1_25lookback_scan_determinismE0ELb0ES3_N6thrust23THRUST_200600_302600_NS18transform_iteratorI9row_indexNS9_17counting_iteratorImNS9_11use_defaultESD_SD_EESD_SD_EENS9_6detail15normal_iteratorINS9_10device_ptrIiEEEESK_iNS9_4plusIvEENS9_8equal_toIvEEiEE10hipError_tPvRmT2_T3_T4_T5_mT6_T7_P12ihipStream_tbENKUlT_T0_E_clISt17integral_constantIbLb0EES14_IbLb1EEEEDaS10_S11_EUlS10_E_NS1_11comp_targetILNS1_3genE8ELNS1_11target_archE1030ELNS1_3gpuE2ELNS1_3repE0EEENS1_30default_config_static_selectorELNS0_4arch9wavefront6targetE1EEEvT1_
    .private_segment_fixed_size: 0
    .sgpr_count:     4
    .sgpr_spill_count: 0
    .symbol:         _ZN7rocprim17ROCPRIM_400000_NS6detail17trampoline_kernelINS0_14default_configENS1_27scan_by_key_config_selectorImiEEZZNS1_16scan_by_key_implILNS1_25lookback_scan_determinismE0ELb0ES3_N6thrust23THRUST_200600_302600_NS18transform_iteratorI9row_indexNS9_17counting_iteratorImNS9_11use_defaultESD_SD_EESD_SD_EENS9_6detail15normal_iteratorINS9_10device_ptrIiEEEESK_iNS9_4plusIvEENS9_8equal_toIvEEiEE10hipError_tPvRmT2_T3_T4_T5_mT6_T7_P12ihipStream_tbENKUlT_T0_E_clISt17integral_constantIbLb0EES14_IbLb1EEEEDaS10_S11_EUlS10_E_NS1_11comp_targetILNS1_3genE8ELNS1_11target_archE1030ELNS1_3gpuE2ELNS1_3repE0EEENS1_30default_config_static_selectorELNS0_4arch9wavefront6targetE1EEEvT1_.kd
    .uniform_work_group_size: 1
    .uses_dynamic_stack: false
    .vgpr_count:     0
    .vgpr_spill_count: 0
    .wavefront_size: 64
  - .agpr_count:     0
    .args:
      - .offset:         0
        .size:           48
        .value_kind:     by_value
      - .offset:         48
        .size:           8
        .value_kind:     by_value
      - .offset:         56
        .size:           8
        .value_kind:     by_value
    .group_segment_fixed_size: 0
    .kernarg_segment_align: 8
    .kernarg_segment_size: 64
    .language:       OpenCL C
    .language_version:
      - 2
      - 0
    .max_flat_workgroup_size: 256
    .name:           _ZN6thrust23THRUST_200600_302600_NS11hip_rocprim14__parallel_for6kernelILj256ENS1_11__transform17unary_transform_fINS0_20permutation_iteratorINS0_6detail15normal_iteratorINS0_10device_ptrIiEEEENS0_18transform_iteratorI15transpose_indexNS0_17counting_iteratorImNS0_11use_defaultESF_SF_EESF_SF_EEEESB_NS4_14no_stencil_tagENS1_8identityENS4_21always_true_predicateEEExLj1EEEvT0_T1_SO_
    .private_segment_fixed_size: 0
    .sgpr_count:     20
    .sgpr_spill_count: 0
    .symbol:         _ZN6thrust23THRUST_200600_302600_NS11hip_rocprim14__parallel_for6kernelILj256ENS1_11__transform17unary_transform_fINS0_20permutation_iteratorINS0_6detail15normal_iteratorINS0_10device_ptrIiEEEENS0_18transform_iteratorI15transpose_indexNS0_17counting_iteratorImNS0_11use_defaultESF_SF_EESF_SF_EEEESB_NS4_14no_stencil_tagENS1_8identityENS4_21always_true_predicateEEExLj1EEEvT0_T1_SO_.kd
    .uniform_work_group_size: 1
    .uses_dynamic_stack: false
    .vgpr_count:     13
    .vgpr_spill_count: 0
    .wavefront_size: 64
amdhsa.target:   amdgcn-amd-amdhsa--gfx90a
amdhsa.version:
  - 1
  - 2
...

	.end_amdgpu_metadata
